;; amdgpu-corpus repo=zjin-lcf/HeCBench kind=compiled arch=gfx1100 opt=O3
	.text
	.amdgcn_target "amdgcn-amd-amdhsa--gfx1100"
	.amdhsa_code_object_version 6
	.protected	_Z5bonds12inArgsStruct13resultsStructi ; -- Begin function _Z5bonds12inArgsStruct13resultsStructi
	.globl	_Z5bonds12inArgsStruct13resultsStructi
	.p2align	8
	.type	_Z5bonds12inArgsStruct13resultsStructi,@function
_Z5bonds12inArgsStruct13resultsStructi: ; @_Z5bonds12inArgsStruct13resultsStructi
; %bb.0:
	s_clause 0x1
	s_load_b32 s2, s[0:1], 0x6c
	s_load_b32 s3, s[0:1], 0x58
	s_waitcnt lgkmcnt(0)
	s_and_b32 s2, s2, 0xffff
	s_delay_alu instid0(SALU_CYCLE_1) | instskip(SKIP_1) | instid1(VALU_DEP_1)
	v_mad_u64_u32 v[169:170], null, s15, s2, v[0:1]
	s_mov_b32 s2, exec_lo
	v_cmpx_gt_i32_e64 s3, v169
	s_cbranch_execz .LBB0_225
; %bb.1:
	s_load_b256 s[8:15], s[0:1], 0x10
	v_ashrrev_i32_e32 v170, 31, v169
	v_mov_b32_e32 v173, 0
	v_add_nc_u32_e64 v174, 0, -4
	s_mov_b32 s3, exec_lo
	s_waitcnt lgkmcnt(0)
	v_mad_i64_i32 v[167:168], null, v169, 36, s[14:15]
	s_load_b64 s[14:15], s[0:1], 0x0
	s_clause 0x1
	global_load_b32 v0, v[167:168], off offset:28
	global_load_b32 v1, v[167:168], off offset:12
	s_waitcnt vmcnt(0)
	v_cmpx_gt_i32_e64 v0, v1
	s_cbranch_execz .LBB0_9
; %bb.2:
	global_load_b96 v[164:166], v[167:168], off offset:16
	s_mov_b32 s4, 1
	v_dual_mov_b32 v4, 31 :: v_dual_mov_b32 v5, 28
	s_mov_b32 s5, s4
	s_mov_b32 s6, s4
	;; [unrolled: 1-line block ×3, first 2 shown]
	v_mov_b32_e32 v0, 0
	s_mov_b32 s16, 31
	v_dual_mov_b32 v7, 30 :: v_dual_mov_b32 v6, v4
	s_mov_b32 s17, 30
	s_mov_b32 s19, s16
	;; [unrolled: 1-line block ×7, first 2 shown]
	v_dual_mov_b32 v0, s4 :: v_dual_add_nc_u32 v175, 0xfffff894, v0
	v_dual_mov_b32 v26, 0x130 :: v_dual_mov_b32 v159, s19
	v_dual_mov_b32 v27, 0x14e :: v_dual_mov_b32 v172, s5
	v_dual_mov_b32 v34, 0xb6 :: v_dual_mov_b32 v163, s23
	v_dual_mov_b32 v1, s5 :: v_dual_mov_b32 v2, s6
	v_mov_b32_e32 v3, s7
	v_dual_mov_b32 v9, 29 :: v_dual_mov_b32 v8, v4
	v_dual_mov_b32 v10, v4 :: v_dual_mov_b32 v11, v7
	v_dual_mov_b32 v12, 0 :: v_dual_mov_b32 v19, 0x5a
	v_dual_mov_b32 v18, 59 :: v_dual_mov_b32 v17, v4
	v_dual_mov_b32 v16, 0 :: v_dual_mov_b32 v21, 0x97
	v_dual_mov_b32 v20, 0x78 :: v_dual_mov_b32 v29, v4
	v_dual_mov_b32 v22, 0xb5 :: v_dual_mov_b32 v177, 1
	v_dual_mov_b32 v23, 0xd4 :: v_dual_mov_b32 v30, 60
	v_dual_mov_b32 v24, 0xf3 :: v_dual_mov_b32 v171, s4
	v_dual_mov_b32 v25, 0x111 :: v_dual_mov_b32 v28, 0
	v_dual_mov_b32 v31, 0x5b :: v_dual_mov_b32 v158, s18
	v_dual_mov_b32 v32, 0x79 :: v_dual_mov_b32 v157, s17
	v_dual_mov_b32 v33, 0x98 :: v_dual_mov_b32 v156, s16
	v_dual_mov_b32 v35, 0xd5 :: v_dual_mov_b32 v162, s22
	v_dual_mov_b32 v36, 0xf4 :: v_dual_mov_b32 v161, s21
	v_dual_mov_b32 v37, 0x112 :: v_dual_mov_b32 v160, s20
	v_mov_b32_e32 v38, 0x131
	v_mov_b32_e32 v39, 0x14f
	;; [unrolled: 1-line block ×120, first 2 shown]
	v_add_nc_u32_e64 v176, 0x230, -4
	v_mov_b32_e32 v178, 0x16d
	v_mov_b32_e32 v179, 0xab36
	s_mov_b32 s4, 0
	s_mov_b32 s5, 0
	s_branch .LBB0_4
.LBB0_3:                                ;   in Loop: Header=BB0_4 Depth=1
	s_or_b32 exec_lo, exec_lo, s6
	s_delay_alu instid0(VALU_DEP_2)
	v_add_nc_u32_e32 v155, v175, v166
	s_clause 0x8
	scratch_store_b128 off, v[0:3], off
	scratch_store_b128 off, v[0:3], off offset:16
	scratch_store_b128 off, v[0:3], off offset:32
	;; [unrolled: 1-line block ×5, first 2 shown]
	scratch_store_b8 off, v177, off offset:120
	scratch_store_b128 off, v[0:3], off offset:96
	scratch_store_b64 off, v[171:172], off offset:112
	v_lshlrev_b32_e32 v173, 2, v180
	s_add_i32 s5, s5, 1
	scratch_load_u8 v164, v155, off
	s_clause 0x5
	scratch_store_b128 off, v[8:11], off offset:560
	scratch_store_b128 off, v[156:159], off offset:576
	;; [unrolled: 1-line block ×3, first 2 shown]
	scratch_store_b128 off, v[4:7], off
	scratch_store_b128 off, v[156:159], off offset:16
	scratch_store_b128 off, v[160:163], off offset:32
	v_lshl_add_u32 v181, v166, 2, 0
	s_waitcnt vmcnt(0)
	v_and_b32_e32 v164, 1, v164
	s_delay_alu instid0(VALU_DEP_1) | instskip(SKIP_1) | instid1(VALU_DEP_1)
	v_cmp_eq_u32_e32 vcc_lo, 1, v164
	v_cndmask_b32_e32 v164, v174, v176, vcc_lo
	v_add_nc_u32_e32 v164, v164, v173
	scratch_load_b32 v164, v164, off
	s_clause 0x8
	scratch_store_b128 off, v[0:3], off
	scratch_store_b128 off, v[0:3], off offset:16
	scratch_store_b128 off, v[0:3], off offset:32
	;; [unrolled: 1-line block ×5, first 2 shown]
	scratch_store_b8 off, v177, off offset:120
	scratch_store_b128 off, v[0:3], off offset:96
	scratch_store_b64 off, v[171:172], off offset:112
	scratch_load_u8 v155, v155, off
	s_clause 0x7
	scratch_store_b128 off, v[28:31], off offset:560
	scratch_store_b128 off, v[32:35], off offset:576
	;; [unrolled: 1-line block ×3, first 2 shown]
	scratch_store_b32 off, v13, off offset:608
	scratch_store_b128 off, v[16:19], off
	scratch_store_b128 off, v[20:23], off offset:16
	scratch_store_b128 off, v[24:27], off offset:32
	scratch_store_b32 off, v178, off offset:48
	s_waitcnt vmcnt(1)
	v_min_i32_e32 v165, v164, v165
	v_mov_b32_e32 v164, v180
	s_waitcnt vmcnt(0)
	v_dual_mov_b32 v155, v153 :: v_dual_and_b32 v182, 1, v155
	s_delay_alu instid0(VALU_DEP_1) | instskip(SKIP_1) | instid1(VALU_DEP_1)
	v_cmp_eq_u32_e32 vcc_lo, 1, v182
	v_dual_cndmask_b32 v182, v174, v176 :: v_dual_add_nc_u32 v181, 0xfffff000, v181
	v_add_nc_u32_e32 v173, v182, v173
	scratch_load_b32 v173, v173, off
	s_clause 0x1e
	scratch_store_b128 off, v[12:15], off
	scratch_store_b128 off, v[40:43], off offset:16
	scratch_store_b128 off, v[44:47], off offset:32
	;; [unrolled: 1-line block ×29, first 2 shown]
	scratch_store_b32 off, v179, off offset:480
	scratch_load_b32 v155, v181, off offset:-3504
	global_load_b32 v181, v[167:168], off offset:12
	s_waitcnt vmcnt(1)
	v_add3_u32 v155, v173, v165, v155
	v_mov_b32_e32 v173, s5
	s_waitcnt vmcnt(0)
	s_delay_alu instid0(VALU_DEP_2) | instskip(SKIP_1) | instid1(SALU_CYCLE_1)
	v_cmp_le_i32_e32 vcc_lo, v155, v181
	s_or_b32 s4, vcc_lo, s4
	s_and_not1_b32 exec_lo, exec_lo, s4
	s_cbranch_execz .LBB0_8
.LBB0_4:                                ; =>This Inner Loop Header: Depth=1
	s_waitcnt vmcnt(0)
	v_add_nc_u32_e32 v180, -6, v164
	s_mov_b32 s2, exec_lo
	s_delay_alu instid0(VALU_DEP_1)
	v_cmpx_lt_i32_e32 12, v180
; %bb.5:                                ;   in Loop: Header=BB0_4 Depth=1
	v_sub_nc_u32_e64 v155, v180, 24 clamp
	s_delay_alu instid0(VALU_DEP_1) | instskip(NEXT) | instid1(VALU_DEP_1)
	v_add_nc_u32_e32 v155, 11, v155
	v_mul_hi_u32 v155, 0xaaaaaaab, v155
	s_delay_alu instid0(VALU_DEP_1) | instskip(NEXT) | instid1(VALU_DEP_1)
	v_lshrrev_b32_e32 v155, 3, v155
	v_mul_lo_u32 v173, v155, -12
	v_add3_u32 v166, v166, v155, 1
	s_delay_alu instid0(VALU_DEP_2)
	v_add3_u32 v180, v164, v173, 0xffffffee
; %bb.6:                                ;   in Loop: Header=BB0_4 Depth=1
	s_or_b32 exec_lo, exec_lo, s2
	s_delay_alu instid0(SALU_CYCLE_1) | instskip(NEXT) | instid1(VALU_DEP_1)
	s_mov_b32 s6, exec_lo
	v_cmpx_gt_i32_e32 1, v180
	s_cbranch_execz .LBB0_3
; %bb.7:                                ;   in Loop: Header=BB0_4 Depth=1
	v_max_i32_e32 v155, -11, v180
	v_cmp_gt_i32_e32 vcc_lo, -11, v180
	s_delay_alu instid0(VALU_DEP_2) | instskip(NEXT) | instid1(VALU_DEP_1)
	v_sub_co_ci_u32_e64 v155, s2, v155, v180, vcc_lo
	v_mul_hi_u32 v155, 0xaaaaaaab, v155
	s_delay_alu instid0(VALU_DEP_1) | instskip(NEXT) | instid1(VALU_DEP_1)
	v_lshrrev_b32_e32 v155, 3, v155
	v_add_co_ci_u32_e32 v155, vcc_lo, 0, v155, vcc_lo
	s_delay_alu instid0(VALU_DEP_1) | instskip(SKIP_1) | instid1(VALU_DEP_2)
	v_mul_lo_u32 v164, v155, 12
	v_xad_u32 v166, v155, -1, v166
	v_add3_u32 v180, v180, v164, 12
	s_branch .LBB0_3
.LBB0_8:
	s_or_b32 exec_lo, exec_lo, s4
.LBB0_9:
	s_delay_alu instid0(SALU_CYCLE_1)
	s_or_b32 exec_lo, exec_lo, s3
	s_clause 0x1
	global_load_b96 v[6:8], v[167:168], off offset:16
	global_load_b32 v160, v[167:168], off offset:32
	s_load_b256 s[16:23], s[0:1], 0x38
	s_mov_b32 s0, exec_lo
	s_waitcnt vmcnt(1)
	v_mad_u64_u32 v[0:1], null, v173, -6, v[6:7]
	v_mov_b32_e32 v2, v8
	s_delay_alu instid0(VALU_DEP_2)
	v_cmpx_lt_i32_e32 12, v0
; %bb.10:
	v_sub_nc_u32_e64 v1, v0, 24 clamp
	s_delay_alu instid0(VALU_DEP_1) | instskip(NEXT) | instid1(VALU_DEP_1)
	v_add_nc_u32_e32 v1, 11, v1
	v_mul_hi_u32 v1, 0xaaaaaaab, v1
	s_delay_alu instid0(VALU_DEP_1) | instskip(NEXT) | instid1(VALU_DEP_1)
	v_lshrrev_b32_e32 v1, 3, v1
	v_mul_lo_u32 v2, v1, -12
	s_delay_alu instid0(VALU_DEP_1)
	v_add3_u32 v0, v0, v2, -12
	v_add3_u32 v2, v8, v1, 1
; %bb.11:
	s_or_b32 exec_lo, exec_lo, s0
	s_mov_b32 s4, 1
	s_mov_b32 s1, exec_lo
	v_cmpx_gt_i32_e32 1, v0
; %bb.12:
	v_max_i32_e32 v1, -11, v0
	v_cmp_gt_i32_e32 vcc_lo, -11, v0
	s_delay_alu instid0(VALU_DEP_2) | instskip(NEXT) | instid1(VALU_DEP_1)
	v_sub_co_ci_u32_e64 v1, s0, v1, v0, vcc_lo
	v_mul_hi_u32 v1, 0xaaaaaaab, v1
	s_delay_alu instid0(VALU_DEP_1) | instskip(NEXT) | instid1(VALU_DEP_1)
	v_lshrrev_b32_e32 v1, 3, v1
	v_add_co_ci_u32_e32 v1, vcc_lo, 0, v1, vcc_lo
	s_delay_alu instid0(VALU_DEP_1) | instskip(SKIP_1) | instid1(VALU_DEP_2)
	v_mul_lo_u32 v3, v1, 12
	v_xad_u32 v2, v1, -1, v2
	v_add3_u32 v0, v0, v3, 12
; %bb.13:
	s_or_b32 exec_lo, exec_lo, s1
	s_mov_b32 s7, s4
	s_mov_b32 s5, s4
	;; [unrolled: 1-line block ×3, first 2 shown]
	s_delay_alu instid0(SALU_CYCLE_1)
	v_dual_mov_b32 v11, s7 :: v_dual_mov_b32 v10, s6
	v_dual_mov_b32 v9, s5 :: v_dual_mov_b32 v8, s4
	;; [unrolled: 1-line block ×3, first 2 shown]
	v_dual_mov_b32 v20, s4 :: v_dual_add_nc_u32 v23, 0, v2
	s_clause 0x8
	scratch_store_b128 off, v[8:11], off
	scratch_store_b128 off, v[8:11], off offset:16
	scratch_store_b128 off, v[8:11], off offset:32
	;; [unrolled: 1-line block ×5, first 2 shown]
	scratch_store_b8 off, v22, off offset:120
	scratch_store_b128 off, v[8:11], off offset:96
	scratch_store_b64 off, v[20:21], off offset:112
	s_mov_b32 s0, 31
	s_mov_b32 s1, 30
	scratch_load_u8 v1, v23, off offset:-1900
	s_mov_b32 s2, s0
	s_mov_b32 s3, s0
	v_dual_mov_b32 v6, 30 :: v_dual_mov_b32 v145, 0x230
	v_dual_mov_b32 v15, s3 :: v_dual_mov_b32 v12, s0
	;; [unrolled: 1-line block ×3, first 2 shown]
	v_lshlrev_b32_e32 v144, 2, v0
	s_mov_b32 s7, s0
	s_mov_b32 s4, s1
	s_delay_alu instid0(VALU_DEP_2)
	v_mov_b32_e32 v5, v3
	s_mov_b32 s5, s0
	s_mov_b32 s6, s1
	v_dual_mov_b32 v19, s7 :: v_dual_mov_b32 v16, s4
	v_dual_mov_b32 v13, s1 :: v_dual_mov_b32 v18, s6
	v_mov_b32_e32 v17, s5
	scratch_store_b128 off, v[3:6], off
	v_dual_mov_b32 v4, 29 :: v_dual_mov_b32 v141, 0xa6ef
	v_mov_b32_e32 v24, 0xf4
	scratch_store_b128 off, v[16:19], off offset:592
	v_mov_b32_e32 v25, 0x112
	v_mov_b32_e32 v26, 0x131
	;; [unrolled: 1-line block ×119, first 2 shown]
	s_mov_b32 s0, exec_lo
	s_clause 0x3
	scratch_store_b128 off, v[12:15], off offset:16
	scratch_store_b128 off, v[16:19], off offset:32
	scratch_store_b128 off, v[3:6], off offset:560
	scratch_store_b128 off, v[12:15], off offset:576
	v_mov_b32_e32 v12, 0x78
	v_mov_b32_e32 v13, 0x97
	v_dual_mov_b32 v14, 0xb5 :: v_dual_mov_b32 v143, v141
	v_mov_b32_e32 v15, 0xd4
	v_mov_b32_e32 v17, 0x111
	;; [unrolled: 1-line block ×4, first 2 shown]
	v_lshl_add_u32 v6, v2, 2, 0
	s_delay_alu instid0(VALU_DEP_1) | instskip(SKIP_2) | instid1(VALU_DEP_1)
	v_add_nc_u32_e32 v6, 0xfffff000, v6
	s_waitcnt vmcnt(0)
	v_and_b32_e32 v1, 1, v1
	v_cmp_eq_u32_e32 vcc_lo, 1, v1
	v_cndmask_b32_e32 v1, 0, v145, vcc_lo
	s_delay_alu instid0(VALU_DEP_1)
	v_add_nc_u32_e32 v1, v1, v144
	scratch_load_b32 v1, v1, off offset:-4
	s_clause 0x8
	scratch_store_b128 off, v[8:11], off
	scratch_store_b128 off, v[8:11], off offset:16
	scratch_store_b128 off, v[8:11], off offset:32
	;; [unrolled: 1-line block ×5, first 2 shown]
	scratch_store_b8 off, v22, off offset:120
	scratch_store_b128 off, v[8:11], off offset:96
	scratch_store_b64 off, v[20:21], off offset:112
	v_mov_b32_e32 v10, 59
	scratch_load_u8 v4, v23, off offset:-1900
	v_dual_mov_b32 v11, 0x5a :: v_dual_mov_b32 v8, 0
	v_dual_mov_b32 v9, v3 :: v_dual_mov_b32 v20, 0x79
	v_mov_b32_e32 v21, 0x98
	v_mov_b32_e32 v22, 0xb6
	s_waitcnt vmcnt(0)
	v_dual_mov_b32 v23, 0xd5 :: v_dual_and_b32 v4, 1, v4
	s_delay_alu instid0(VALU_DEP_1)
	v_cmp_eq_u32_e32 vcc_lo, 1, v4
	v_mov_b32_e32 v16, 0xf3
	v_add_nc_u32_e32 v4, 6, v0
	s_clause 0x1
	scratch_store_b128 off, v[8:11], off
	scratch_store_b128 off, v[12:15], off offset:16
	v_dual_mov_b32 v10, 60 :: v_dual_cndmask_b32 v3, 0, v145
	v_mov_b32_e32 v18, 0x130
	v_mov_b32_e32 v11, 0x5b
	s_delay_alu instid0(VALU_DEP_3)
	v_add_nc_u32_e32 v3, v3, v144
	s_clause 0x2
	scratch_store_b128 off, v[16:19], off offset:32
	scratch_store_b32 off, v5, off offset:48
	scratch_store_b128 off, v[8:11], off offset:560
	v_mov_b32_e32 v9, 0x16e
	v_mov_b32_e32 v10, 0x2db
	;; [unrolled: 1-line block ×3, first 2 shown]
	s_clause 0x2
	scratch_store_b128 off, v[20:23], off offset:576
	scratch_store_b128 off, v[24:27], off offset:592
	scratch_store_b32 off, v9, off offset:608
	scratch_load_b32 v3, v3, off offset:-4
	s_clause 0x1e
	scratch_store_b128 off, v[8:11], off
	scratch_store_b128 off, v[28:31], off offset:16
	scratch_store_b128 off, v[32:35], off offset:32
	;; [unrolled: 1-line block ×29, first 2 shown]
	scratch_store_b32 off, v146, off offset:480
	scratch_load_b32 v163, v6, off offset:-3504
	v_mov_b32_e32 v6, v2
	v_cmpx_lt_i32_e32 12, v4
; %bb.14:
	v_sub_nc_u32_e64 v4, v4, 24 clamp
	s_delay_alu instid0(VALU_DEP_1) | instskip(NEXT) | instid1(VALU_DEP_1)
	v_add_nc_u32_e32 v4, 11, v4
	v_mul_hi_u32 v4, 0xaaaaaaab, v4
	s_delay_alu instid0(VALU_DEP_1) | instskip(NEXT) | instid1(VALU_DEP_1)
	v_lshrrev_b32_e32 v5, 3, v4
	v_mul_lo_u32 v4, v5, -12
	v_add3_u32 v6, v2, v5, 1
	s_delay_alu instid0(VALU_DEP_2)
	v_add3_u32 v4, v0, v4, -6
; %bb.15:
	s_or_b32 exec_lo, exec_lo, s0
	s_delay_alu instid0(SALU_CYCLE_1) | instskip(NEXT) | instid1(VALU_DEP_1)
	s_mov_b32 s1, exec_lo
	v_cmpx_gt_i32_e32 1, v4
; %bb.16:
	v_max_i32_e32 v5, -11, v4
	v_cmp_gt_i32_e32 vcc_lo, -11, v4
	s_delay_alu instid0(VALU_DEP_2) | instskip(NEXT) | instid1(VALU_DEP_1)
	v_sub_co_ci_u32_e64 v5, s0, v5, v4, vcc_lo
	v_mul_hi_u32 v5, 0xaaaaaaab, v5
	s_delay_alu instid0(VALU_DEP_1) | instskip(NEXT) | instid1(VALU_DEP_1)
	v_lshrrev_b32_e32 v5, 3, v5
	v_add_co_ci_u32_e32 v5, vcc_lo, 0, v5, vcc_lo
	s_delay_alu instid0(VALU_DEP_1) | instskip(SKIP_1) | instid1(VALU_DEP_2)
	v_mul_lo_u32 v8, v5, 12
	v_xad_u32 v6, v5, -1, v6
	v_add3_u32 v4, v4, v8, 12
; %bb.17:
	s_or_b32 exec_lo, exec_lo, s1
	s_mov_b32 s4, 1
	s_mov_b32 s25, 30
	;; [unrolled: 1-line block ×5, first 2 shown]
	s_delay_alu instid0(SALU_CYCLE_1)
	v_dual_mov_b32 v19, s7 :: v_dual_mov_b32 v18, s6
	s_mov_b32 s3, s4
	v_dual_mov_b32 v17, s5 :: v_dual_mov_b32 v16, s4
	s_mov_b32 s2, s4
	v_dual_mov_b32 v29, s3 :: v_dual_add_nc_u32 v30, 0, v6
	v_dual_mov_b32 v161, 1 :: v_dual_mov_b32 v28, s2
	s_clause 0x8
	scratch_store_b128 off, v[16:19], off
	scratch_store_b128 off, v[16:19], off offset:16
	scratch_store_b128 off, v[16:19], off offset:32
	;; [unrolled: 1-line block ×5, first 2 shown]
	scratch_store_b8 off, v161, off offset:120
	scratch_store_b128 off, v[16:19], off offset:96
	scratch_store_b64 off, v[28:29], off offset:112
	scratch_load_u8 v5, v30, off offset:-1900
	s_mov_b32 s24, 31
	s_mov_b32 s28, s25
	;; [unrolled: 1-line block ×7, first 2 shown]
	v_dual_mov_b32 v165, 0x230 :: v_dual_mov_b32 v8, 31
	v_mov_b32_e32 v9, 28
	v_dual_mov_b32 v13, 29 :: v_dual_mov_b32 v20, s24
	v_dual_mov_b32 v11, 30 :: v_dual_lshlrev_b32 v166, 2, v4
	v_dual_mov_b32 v22, s26 :: v_dual_mov_b32 v21, s25
	v_dual_mov_b32 v23, s27 :: v_dual_mov_b32 v10, v8
	s_delay_alu instid0(VALU_DEP_3)
	v_mov_b32_e32 v15, v11
	v_mov_b32_e32 v157, 0xa6ef
	;; [unrolled: 1-line block ×129, first 2 shown]
	s_mov_b32 s33, 0
	s_mov_b32 s1, exec_lo
	v_dual_mov_b32 v24, s28 :: v_dual_mov_b32 v25, s29
	v_mov_b32_e32 v12, v8
	v_dual_mov_b32 v26, s30 :: v_dual_mov_b32 v27, s31
	v_dual_mov_b32 v14, v8 :: v_dual_mov_b32 v159, v157
	s_clause 0x5
	scratch_store_b128 off, v[24:27], off offset:592
	scratch_store_b128 off, v[8:11], off
	scratch_store_b128 off, v[20:23], off offset:16
	scratch_store_b128 off, v[24:27], off offset:32
	;; [unrolled: 1-line block ×4, first 2 shown]
	v_lshl_add_u32 v12, v6, 2, 0
	v_mov_b32_e32 v22, 0xb5
	v_mov_b32_e32 v24, 0xf3
	;; [unrolled: 1-line block ×4, first 2 shown]
	v_add_nc_u32_e32 v12, 0xfffff000, v12
	s_waitcnt vmcnt(0)
	v_and_b32_e32 v5, 1, v5
	s_delay_alu instid0(VALU_DEP_1) | instskip(SKIP_1) | instid1(VALU_DEP_1)
	v_cmp_eq_u32_e32 vcc_lo, 1, v5
	v_cndmask_b32_e32 v5, 0, v165, vcc_lo
	v_add_nc_u32_e32 v5, v5, v166
	scratch_load_b32 v5, v5, off offset:-4
	s_clause 0x8
	scratch_store_b128 off, v[16:19], off
	scratch_store_b128 off, v[16:19], off offset:16
	scratch_store_b128 off, v[16:19], off offset:32
	;; [unrolled: 1-line block ×5, first 2 shown]
	scratch_store_b8 off, v161, off offset:120
	scratch_store_b128 off, v[16:19], off offset:96
	scratch_store_b64 off, v[28:29], off offset:112
	scratch_load_u8 v10, v30, off offset:-1900
	v_dual_mov_b32 v23, 0xd4 :: v_dual_mov_b32 v16, 0
	v_dual_mov_b32 v18, 59 :: v_dual_mov_b32 v19, 0x5a
	v_dual_mov_b32 v30, 60 :: v_dual_mov_b32 v21, 0x97
	s_delay_alu instid0(VALU_DEP_3)
	v_mov_b32_e32 v28, v16
	v_mov_b32_e32 v17, v8
	v_mov_b32_e32 v29, v8
	v_dual_mov_b32 v25, 0x111 :: v_dual_mov_b32 v40, v16
	s_waitcnt vmcnt(0)
	v_and_b32_e32 v10, 1, v10
	s_delay_alu instid0(VALU_DEP_1) | instskip(SKIP_1) | instid1(VALU_DEP_1)
	v_cmp_eq_u32_e32 vcc_lo, 1, v10
	v_dual_mov_b32 v27, 0x14e :: v_dual_cndmask_b32 v10, 0, v165
	v_dual_mov_b32 v31, 0x5b :: v_dual_add_nc_u32 v10, v10, v166
	s_clause 0x7
	scratch_store_b128 off, v[28:31], off offset:560
	scratch_store_b128 off, v[32:35], off offset:576
	;; [unrolled: 1-line block ×3, first 2 shown]
	scratch_store_b32 off, v41, off offset:608
	scratch_store_b128 off, v[16:19], off
	scratch_store_b128 off, v[20:23], off offset:16
	scratch_store_b128 off, v[24:27], off offset:32
	scratch_store_b32 off, v162, off offset:48
	scratch_load_b32 v10, v10, off offset:-4
	s_clause 0x1e
	scratch_store_b128 off, v[40:43], off
	scratch_store_b128 off, v[44:47], off offset:16
	scratch_store_b128 off, v[48:51], off offset:32
	;; [unrolled: 1-line block ×29, first 2 shown]
	scratch_store_b32 off, v164, off offset:480
	scratch_load_b32 v12, v12, off offset:-3504
	v_cmpx_ne_u32_e32 0, v173
	s_cbranch_execz .LBB0_24
; %bb.18:
	v_min_i32_e32 v1, v1, v7
	s_movk_i32 s0, 0xf894
	v_readfirstlane_b32 s34, v165
	v_add_nc_u32_e64 v166, 0x1f0, -4
	v_mov_b32_e32 v165, -1.0
	v_min_i32_e32 v5, v5, v1
	v_add_nc_u32_e64 v171, s0, 0
	v_add3_u32 v3, v3, v1, v163
	v_mov_b32_e32 v163, v173
	s_mov_b32 s34, s34
	s_waitcnt vmcnt(0)
	v_add3_u32 v7, v10, v5, v12
	s_branch .LBB0_20
.LBB0_19:                               ;   in Loop: Header=BB0_20 Depth=1
	s_or_b32 exec_lo, exec_lo, s35
	v_dual_mov_b32 v0, s4 :: v_dual_mov_b32 v1, s5
	v_dual_mov_b32 v2, s6 :: v_dual_mov_b32 v3, s7
	v_add_nc_u32_e32 v17, v171, v175
	v_dual_mov_b32 v29, s3 :: v_dual_mov_b32 v28, s2
	s_clause 0x8
	scratch_store_b128 off, v[0:3], off
	scratch_store_b128 off, v[0:3], off offset:16
	scratch_store_b128 off, v[0:3], off offset:32
	scratch_store_b128 off, v[0:3], off offset:48
	scratch_store_b128 off, v[0:3], off offset:64
	scratch_store_b128 off, v[0:3], off offset:80
	scratch_store_b8 off, v161, off offset:120
	scratch_store_b128 off, v[0:3], off offset:96
	scratch_store_b64 off, v[28:29], off offset:112
	v_dual_mov_b32 v179, s27 :: v_dual_mov_b32 v176, s24
	v_mov_b32_e32 v178, s26
	scratch_load_u8 v10, v17, off
	v_dual_mov_b32 v177, s25 :: v_dual_mov_b32 v12, v8
	v_dual_mov_b32 v15, v11 :: v_dual_mov_b32 v14, v8
	v_dual_mov_b32 v183, s31 :: v_dual_lshlrev_b32 v184, 2, v172
	v_dual_mov_b32 v181, s29 :: v_dual_mov_b32 v182, s30
	v_dual_mov_b32 v180, s28 :: v_dual_mov_b32 v159, v157
	s_add_i32 s34, s34, 52
	v_add_nc_u32_e32 v163, -1, v163
	s_waitcnt vmcnt(0)
	v_and_b32_e32 v10, 1, v10
	s_clause 0x1
	scratch_store_b128 off, v[12:15], off offset:496
	scratch_store_b128 off, v[176:179], off offset:512
	v_cmp_eq_u32_e32 vcc_lo, 1, v10
	v_mov_b32_e32 v10, v8
	s_clause 0x3
	scratch_store_b128 off, v[180:183], off offset:528
	scratch_store_b128 off, v[8:11], off
	scratch_store_b128 off, v[176:179], off offset:16
	scratch_store_b128 off, v[180:183], off offset:32
	v_cndmask_b32_e32 v40, v174, v166, vcc_lo
	s_delay_alu instid0(VALU_DEP_1)
	v_add_nc_u32_e32 v12, v40, v184
	scratch_load_b32 v10, v12, off
	s_clause 0x8
	scratch_store_b128 off, v[0:3], off
	scratch_store_b128 off, v[0:3], off offset:16
	scratch_store_b128 off, v[0:3], off offset:32
	;; [unrolled: 1-line block ×5, first 2 shown]
	scratch_store_b8 off, v161, off offset:120
	scratch_store_b128 off, v[0:3], off offset:96
	scratch_store_b64 off, v[28:29], off offset:112
	v_mov_b32_e32 v3, v7
	scratch_load_u8 v0, v17, off
	v_lshl_add_u32 v1, v175, 2, 0
	v_mov_b32_e32 v17, v8
	v_mov_b32_e32 v28, v16
	;; [unrolled: 1-line block ×3, first 2 shown]
	s_clause 0x3
	scratch_store_b128 off, v[28:31], off offset:496
	scratch_store_b128 off, v[32:35], off offset:512
	;; [unrolled: 1-line block ×3, first 2 shown]
	scratch_store_b32 off, v41, off offset:544
	v_add_nc_u32_e32 v1, 0xfffff000, v1
	s_clause 0x3
	scratch_store_b128 off, v[16:19], off
	scratch_store_b128 off, v[20:23], off offset:16
	scratch_store_b128 off, v[24:27], off offset:32
	scratch_store_b32 off, v162, off offset:48
	v_mov_b32_e32 v2, v6
	v_mov_b32_e32 v6, v175
	s_waitcnt vmcnt(1)
	v_min_i32_e32 v10, v10, v5
	v_mov_b32_e32 v40, v16
	s_waitcnt vmcnt(0)
	v_and_b32_e32 v0, 1, v0
	s_delay_alu instid0(VALU_DEP_1) | instskip(SKIP_2) | instid1(VALU_DEP_2)
	v_cmp_eq_u32_e32 vcc_lo, 1, v0
	v_cndmask_b32_e32 v0, v174, v166, vcc_lo
	v_cmp_eq_u32_e32 vcc_lo, 0, v163
	v_add_nc_u32_e32 v0, v0, v184
	s_or_b32 s33, vcc_lo, s33
	scratch_load_b32 v0, v0, off
	s_clause 0x1e
	scratch_store_b128 off, v[40:43], off
	scratch_store_b128 off, v[44:47], off offset:16
	scratch_store_b128 off, v[48:51], off offset:32
	;; [unrolled: 1-line block ×29, first 2 shown]
	scratch_store_b32 off, v164, off offset:480
	scratch_load_b32 v12, v1, off offset:-3504
	v_mov_b32_e32 v1, v5
	v_mov_b32_e32 v5, v10
	s_waitcnt vmcnt(0)
	v_add3_u32 v7, v0, v10, v12
	v_mov_b32_e32 v0, v4
	v_mov_b32_e32 v4, v172
	s_and_not1_b32 exec_lo, exec_lo, s33
	s_cbranch_execz .LBB0_24
.LBB0_20:                               ; =>This Inner Loop Header: Depth=1
	s_delay_alu instid0(VALU_DEP_1)
	v_dual_mov_b32 v175, v6 :: v_dual_add_nc_u32 v172, 6, v4
	s_add_i32 s0, s34, 16
	s_add_i32 s35, s34, 32
	s_clause 0x1
	scratch_store_b128 off, v[0:3], s0
	scratch_store_b128 off, v[4:7], s35
	s_add_i32 s0, s34, 48
	s_clause 0x1
	scratch_store_b128 off, v[4:7], s34
	scratch_store_b32 off, v165, s0
	s_mov_b32 s0, exec_lo
	v_cmpx_lt_i32_e32 12, v172
; %bb.21:                               ;   in Loop: Header=BB0_20 Depth=1
	v_sub_nc_u32_e64 v0, v172, 24 clamp
	s_delay_alu instid0(VALU_DEP_1) | instskip(NEXT) | instid1(VALU_DEP_1)
	v_add_nc_u32_e32 v0, 11, v0
	v_mul_hi_u32 v0, 0xaaaaaaab, v0
	s_delay_alu instid0(VALU_DEP_1) | instskip(NEXT) | instid1(VALU_DEP_1)
	v_lshrrev_b32_e32 v0, 3, v0
	v_mul_lo_u32 v1, v0, -12
	v_add3_u32 v175, v6, v0, 1
	s_delay_alu instid0(VALU_DEP_2)
	v_add3_u32 v172, v4, v1, -6
; %bb.22:                               ;   in Loop: Header=BB0_20 Depth=1
	s_or_b32 exec_lo, exec_lo, s0
	s_delay_alu instid0(SALU_CYCLE_1) | instskip(NEXT) | instid1(VALU_DEP_1)
	s_mov_b32 s35, exec_lo
	v_cmpx_gt_i32_e32 1, v172
	s_cbranch_execz .LBB0_19
; %bb.23:                               ;   in Loop: Header=BB0_20 Depth=1
	v_max_i32_e32 v0, -11, v172
	v_cmp_gt_i32_e32 vcc_lo, -11, v172
	s_delay_alu instid0(VALU_DEP_2) | instskip(NEXT) | instid1(VALU_DEP_1)
	v_sub_co_ci_u32_e64 v0, s0, v0, v172, vcc_lo
	v_mul_hi_u32 v0, 0xaaaaaaab, v0
	s_delay_alu instid0(VALU_DEP_1) | instskip(NEXT) | instid1(VALU_DEP_1)
	v_lshrrev_b32_e32 v0, 3, v0
	v_add_co_ci_u32_e32 v0, vcc_lo, 0, v0, vcc_lo
	s_delay_alu instid0(VALU_DEP_1) | instskip(SKIP_1) | instid1(VALU_DEP_2)
	v_mul_lo_u32 v1, v0, 12
	v_xad_u32 v175, v0, -1, v175
	v_add3_u32 v172, v172, v1, 12
	s_branch .LBB0_19
.LBB0_24:
	s_or_b32 exec_lo, exec_lo, s1
	v_lshlrev_b64 v[13:14], 4, v[169:170]
	s_waitcnt vmcnt(0)
	v_lshlrev_b64 v[11:12], 2, v[169:170]
	s_movk_i32 s0, 0x230
	s_delay_alu instid0(SALU_CYCLE_1) | instskip(NEXT) | instid1(VALU_DEP_3)
	v_mad_u64_u32 v[8:9], null, v173, 52, s[0:1]
	v_add_co_u32 v15, vcc_lo, s8, v13
	v_add_co_ci_u32_e32 v16, vcc_lo, s9, v14, vcc_lo
	s_delay_alu instid0(VALU_DEP_4)
	v_add_co_u32 v4, vcc_lo, s12, v11
	global_load_b32 v7, v[167:168], off offset:12
	global_load_b128 v[0:3], v[15:16], off
	v_add_co_ci_u32_e32 v5, vcc_lo, s13, v12, vcc_lo
	global_load_b128 v[18:21], v[167:168], off offset:16
	global_load_b32 v17, v[4:5], off
	v_mov_b32_e32 v9, 0x42c80000
	s_mov_b32 s0, exec_lo
	s_waitcnt vmcnt(2)
	v_dual_mov_b32 v4, v0 :: v_dual_mov_b32 v5, v1
	v_mov_b32_e32 v6, v2
	v_mov_b32_e32 v10, v3
	s_waitcnt vmcnt(1)
	s_clause 0x3
	scratch_store_b128 v8, v[18:21], off
	scratch_store_b128 v8, v[0:3], off offset:16
	scratch_store_b128 v8, v[0:3], off offset:32
	scratch_store_b32 v8, v9, off offset:48
	v_cmpx_gt_i32_e64 v7, v3
	s_cbranch_execz .LBB0_26
; %bb.25:
	global_load_b96 v[4:6], v[167:168], off
	v_mov_b32_e32 v10, v7
.LBB0_26:
	s_or_b32 exec_lo, exec_lo, s0
	v_or_b32_e64 v19, 0x230, 12
	v_add_nc_u32_e32 v20, 1, v173
	s_mov_b32 s0, 0
	s_mov_b32 s1, 0
                                        ; implicit-def: $sgpr2
	s_delay_alu instid0(VALU_DEP_2)
	v_mov_b32_e32 v7, v19
	s_branch .LBB0_28
	.p2align	6
.LBB0_27:                               ;   in Loop: Header=BB0_28 Depth=1
	s_or_b32 exec_lo, exec_lo, s3
	s_delay_alu instid0(SALU_CYCLE_1) | instskip(NEXT) | instid1(SALU_CYCLE_1)
	s_and_b32 s3, exec_lo, s2
	s_or_b32 s0, s3, s0
	s_delay_alu instid0(SALU_CYCLE_1)
	s_and_not1_b32 exec_lo, exec_lo, s0
	s_cbranch_execz .LBB0_30
.LBB0_28:                               ; =>This Inner Loop Header: Depth=1
	scratch_load_b32 v8, v7, off
	v_mov_b32_e32 v21, s1
	s_or_b32 s2, s2, exec_lo
	s_mov_b32 s3, exec_lo
	s_waitcnt vmcnt(0)
	v_cmpx_lt_i32_e64 v8, v10
	s_cbranch_execz .LBB0_27
; %bb.29:                               ;   in Loop: Header=BB0_28 Depth=1
	s_add_i32 s1, s1, 1
	v_add_nc_u32_e32 v7, 52, v7
	v_cmp_eq_u32_e32 vcc_lo, s1, v20
	v_mov_b32_e32 v21, v173
	s_and_not1_b32 s2, s2, exec_lo
	s_and_b32 s4, vcc_lo, exec_lo
	s_delay_alu instid0(SALU_CYCLE_1)
	s_or_b32 s2, s2, s4
	s_branch .LBB0_27
.LBB0_30:
	s_or_b32 exec_lo, exec_lo, s0
	v_mov_b32_e32 v18, 0
	s_mov_b32 s1, exec_lo
	v_cmpx_le_u32_e64 v21, v173
	s_cbranch_execz .LBB0_38
; %bb.31:
	v_mul_lo_u32 v9, v21, 52
	v_add_co_u32 v7, vcc_lo, s10, v13
	v_add_co_ci_u32_e32 v8, vcc_lo, s11, v14, vcc_lo
	v_dual_mov_b32 v18, 0 :: v_dual_add_nc_u32 v21, -1, v21
	s_delay_alu instid0(VALU_DEP_3) | instskip(NEXT) | instid1(VALU_DEP_3)
	v_add_co_u32 v7, vcc_lo, v7, 12
	v_add_co_ci_u32_e32 v8, vcc_lo, 0, v8, vcc_lo
	v_add3_u32 v9, 0x230, v9, 44
	s_mov_b32 s2, 0
	s_branch .LBB0_34
.LBB0_32:                               ;   in Loop: Header=BB0_34 Depth=1
	s_or_b32 exec_lo, exec_lo, s4
.LBB0_33:                               ;   in Loop: Header=BB0_34 Depth=1
	s_delay_alu instid0(SALU_CYCLE_1) | instskip(NEXT) | instid1(VALU_DEP_1)
	s_or_b32 exec_lo, exec_lo, s3
	v_dual_add_f32 v18, v18, v22 :: v_dual_add_nc_u32 v21, 1, v21
	v_add_nc_u32_e32 v9, 52, v9
	s_delay_alu instid0(VALU_DEP_2) | instskip(SKIP_1) | instid1(SALU_CYCLE_1)
	v_cmp_ge_u32_e32 vcc_lo, v21, v173
	s_or_b32 s2, vcc_lo, s2
	s_and_not1_b32 exec_lo, exec_lo, s2
	s_cbranch_execz .LBB0_37
.LBB0_34:                               ; =>This Inner Loop Header: Depth=1
	scratch_load_b32 v22, v9, off offset:-16
	s_waitcnt vmcnt(0)
	v_cmp_lt_i32_e32 vcc_lo, v22, v10
	v_mov_b32_e32 v22, 0
	s_and_saveexec_b32 s3, vcc_lo
	s_cbranch_execz .LBB0_33
; %bb.35:                               ;   in Loop: Header=BB0_34 Depth=1
	global_load_b32 v22, v[7:8], off
	s_waitcnt vmcnt(0)
	v_cmp_ge_i32_e32 vcc_lo, v22, v10
	v_mov_b32_e32 v22, 0
	s_and_saveexec_b32 s4, vcc_lo
	s_cbranch_execz .LBB0_32
; %bb.36:                               ;   in Loop: Header=BB0_34 Depth=1
	s_clause 0x1
	scratch_load_b128 v[22:25], v9, off offset:-12
	scratch_load_b96 v[26:28], v9, off offset:-28
	s_waitcnt vmcnt(1)
	v_cmp_gt_i32_e32 vcc_lo, v25, v10
	s_waitcnt vmcnt(0)
	v_cmp_gt_i32_e64 s0, 30, v27
	v_not_b32_e32 v26, v26
	v_cndmask_b32_e32 v23, v23, v5, vcc_lo
	v_dual_cndmask_b32 v25, v22, v4 :: v_dual_cndmask_b32 v24, v24, v6
	v_sub_nc_u32_e32 v22, 30, v27
	s_delay_alu instid0(VALU_DEP_3) | instskip(NEXT) | instid1(VALU_DEP_3)
	v_cmp_eq_u32_e32 vcc_lo, 31, v23
	v_sub_nc_u32_e32 v27, v24, v28
	s_delay_alu instid0(VALU_DEP_3) | instskip(SKIP_1) | instid1(SALU_CYCLE_1)
	v_max_i32_e32 v22, 0, v22
	s_and_b32 vcc_lo, vcc_lo, s0
	v_add_co_ci_u32_e64 v25, s0, v25, v26, vcc_lo
	v_min_i32_e32 v26, 30, v23
	s_delay_alu instid0(VALU_DEP_3) | instskip(NEXT) | instid1(VALU_DEP_3)
	v_mad_u64_u32 v[23:24], null, 0x168, v27, v[22:23]
	v_mul_lo_u32 v22, v25, 30
	s_delay_alu instid0(VALU_DEP_3) | instskip(NEXT) | instid1(VALU_DEP_1)
	v_cndmask_b32_e64 v24, v26, 1, vcc_lo
	v_add3_u32 v22, v23, v24, v22
	s_delay_alu instid0(VALU_DEP_1) | instskip(NEXT) | instid1(VALU_DEP_1)
	v_cvt_f32_i32_e32 v22, v22
	v_div_scale_f32 v23, null, 0x43b40000, 0x43b40000, v22
	s_delay_alu instid0(VALU_DEP_1) | instskip(SKIP_2) | instid1(VALU_DEP_1)
	v_rcp_f32_e32 v24, v23
	s_waitcnt_depctr 0xfff
	v_fma_f32 v25, -v23, v24, 1.0
	v_fmac_f32_e32 v24, v25, v24
	v_div_scale_f32 v25, vcc_lo, v22, 0x43b40000, v22
	s_delay_alu instid0(VALU_DEP_1) | instskip(NEXT) | instid1(VALU_DEP_1)
	v_mul_f32_e32 v26, v25, v24
	v_fma_f32 v27, -v23, v26, v25
	s_delay_alu instid0(VALU_DEP_1) | instskip(NEXT) | instid1(VALU_DEP_1)
	v_fmac_f32_e32 v26, v27, v24
	v_fma_f32 v23, -v23, v26, v25
	s_delay_alu instid0(VALU_DEP_1) | instskip(NEXT) | instid1(VALU_DEP_1)
	v_div_fmas_f32 v23, v23, v24, v26
	v_div_fixup_f32 v22, v23, 0x43b40000, v22
	s_delay_alu instid0(VALU_DEP_1) | instskip(NEXT) | instid1(VALU_DEP_1)
	v_fma_f32 v22, v160, v22, 1.0
	v_add_f32_e32 v22, -1.0, v22
	s_delay_alu instid0(VALU_DEP_1)
	v_mul_f32_e32 v22, 0x42c80000, v22
	s_branch .LBB0_32
.LBB0_37:
	s_or_b32 exec_lo, exec_lo, s2
	v_mul_f32_e32 v18, 0x42c80000, v18
.LBB0_38:
	s_or_b32 exec_lo, exec_lo, s1
	v_sub_nc_u32_e32 v7, 30, v5
	v_cmp_gt_i32_e64 s0, 30, v5
	v_not_b32_e32 v5, v4
	v_dual_mov_b32 v21, 0 :: v_dual_mov_b32 v22, 1.0
	s_delay_alu instid0(VALU_DEP_4)
	v_max_i32_e32 v4, 0, v7
	v_mov_b32_e32 v23, 0x230
	s_mov_b32 s2, 0
	s_mov_b32 s3, -1
	s_mov_b32 s4, -1
	s_mov_b32 s5, 0x3e76c4e1
	s_mov_b32 s6, 0
                                        ; implicit-def: $vgpr25
                                        ; implicit-def: $vgpr26
                                        ; implicit-def: $vgpr27
	s_branch .LBB0_41
.LBB0_39:                               ;   in Loop: Header=BB0_41 Depth=1
	s_or_b32 exec_lo, exec_lo, s1
	s_delay_alu instid0(VALU_DEP_1) | instskip(SKIP_1) | instid1(VALU_DEP_1)
	v_cvt_f32_i32_e32 v25, v29
	s_and_not1_b32 s3, s3, exec_lo
	v_div_scale_f32 v26, null, 0x43b40000, 0x43b40000, v25
	v_div_scale_f32 v29, vcc_lo, v25, 0x43b40000, v25
	s_delay_alu instid0(VALU_DEP_2) | instskip(SKIP_2) | instid1(VALU_DEP_1)
	v_rcp_f32_e32 v27, v26
	s_waitcnt_depctr 0xfff
	v_fma_f32 v28, -v26, v27, 1.0
	v_fmac_f32_e32 v27, v28, v27
	s_delay_alu instid0(VALU_DEP_1) | instskip(NEXT) | instid1(VALU_DEP_1)
	v_mul_f32_e32 v28, v29, v27
	v_fma_f32 v30, -v26, v28, v29
	s_delay_alu instid0(VALU_DEP_1) | instskip(NEXT) | instid1(VALU_DEP_1)
	v_fmac_f32_e32 v28, v30, v27
	v_fma_f32 v26, -v26, v28, v29
	s_delay_alu instid0(VALU_DEP_1) | instskip(NEXT) | instid1(VALU_DEP_1)
	v_div_fmas_f32 v26, v26, v27, v28
	v_div_fixup_f32 v25, v26, 0x43b40000, v25
	s_delay_alu instid0(VALU_DEP_1) | instskip(NEXT) | instid1(VALU_DEP_1)
	v_add_f32_e32 v27, v25, v25
	v_cmp_eq_f32_e32 vcc_lo, 0, v27
	v_cndmask_b32_e64 v25, 0x3f833333, 1.0, vcc_lo
	s_delay_alu instid0(VALU_DEP_1) | instskip(NEXT) | instid1(VALU_DEP_1)
	v_frexp_mant_f32_e32 v26, v25
	v_cmp_gt_f32_e64 s1, 0x3f2aaaab, v26
	s_delay_alu instid0(VALU_DEP_1) | instskip(NEXT) | instid1(VALU_DEP_1)
	v_cndmask_b32_e64 v28, 1.0, 2.0, s1
	v_mul_f32_e32 v26, v26, v28
	s_delay_alu instid0(VALU_DEP_1) | instskip(SKIP_1) | instid1(VALU_DEP_2)
	v_add_f32_e32 v28, 1.0, v26
	v_add_f32_e32 v30, -1.0, v26
	v_rcp_f32_e32 v29, v28
	s_waitcnt_depctr 0xfff
	v_dual_mul_f32 v31, v30, v29 :: v_dual_add_f32 v32, -1.0, v28
	s_delay_alu instid0(VALU_DEP_1) | instskip(NEXT) | instid1(VALU_DEP_1)
	v_dual_mul_f32 v33, v28, v31 :: v_dual_sub_f32 v26, v26, v32
	v_fma_f32 v28, v31, v28, -v33
	s_delay_alu instid0(VALU_DEP_1) | instskip(NEXT) | instid1(VALU_DEP_1)
	v_fmac_f32_e32 v28, v31, v26
	v_add_f32_e32 v26, v33, v28
	s_delay_alu instid0(VALU_DEP_1) | instskip(SKIP_1) | instid1(VALU_DEP_2)
	v_sub_f32_e32 v32, v30, v26
	v_sub_f32_e32 v33, v26, v33
	;; [unrolled: 1-line block ×3, first 2 shown]
	s_delay_alu instid0(VALU_DEP_2) | instskip(NEXT) | instid1(VALU_DEP_2)
	v_sub_f32_e32 v28, v33, v28
	v_sub_f32_e32 v26, v30, v26
	s_delay_alu instid0(VALU_DEP_1) | instskip(NEXT) | instid1(VALU_DEP_1)
	v_add_f32_e32 v26, v28, v26
	v_add_f32_e32 v26, v32, v26
	s_delay_alu instid0(VALU_DEP_1) | instskip(NEXT) | instid1(VALU_DEP_1)
	v_mul_f32_e32 v26, v29, v26
	v_add_f32_e32 v28, v31, v26
	s_delay_alu instid0(VALU_DEP_1) | instskip(NEXT) | instid1(VALU_DEP_1)
	v_sub_f32_e32 v29, v28, v31
	v_dual_mul_f32 v30, v28, v28 :: v_dual_sub_f32 v29, v26, v29
	s_delay_alu instid0(VALU_DEP_1) | instskip(NEXT) | instid1(VALU_DEP_2)
	v_fma_f32 v31, v28, v28, -v30
	v_add_f32_e32 v26, v29, v29
	s_delay_alu instid0(VALU_DEP_1) | instskip(SKIP_1) | instid1(VALU_DEP_2)
	v_fmac_f32_e32 v31, v28, v26
	v_cvt_f64_f32_e32 v[25:26], v25
	v_add_f32_e32 v32, v30, v31
	s_delay_alu instid0(VALU_DEP_1) | instskip(SKIP_1) | instid1(VALU_DEP_2)
	v_dual_fmaak_f32 v33, s5, v32, 0x3e91f4c4 :: v_dual_sub_f32 v30, v32, v30
	v_mul_f32_e32 v36, v28, v32
	v_dual_fmaak_f32 v33, v32, v33, 0x3ecccdef :: v_dual_sub_f32 v30, v31, v30
	s_delay_alu instid0(VALU_DEP_1) | instskip(NEXT) | instid1(VALU_DEP_1)
	v_mul_f32_e32 v34, v32, v33
	v_fma_f32 v31, v32, v33, -v34
	s_delay_alu instid0(VALU_DEP_1) | instskip(NEXT) | instid1(VALU_DEP_1)
	v_fmac_f32_e32 v31, v30, v33
	v_add_f32_e32 v33, v34, v31
	v_frexp_exp_i32_f64_e32 v25, v[25:26]
	s_delay_alu instid0(VALU_DEP_2) | instskip(NEXT) | instid1(VALU_DEP_1)
	v_dual_sub_f32 v34, v33, v34 :: v_dual_add_f32 v35, 0x3f2aaaaa, v33
	v_dual_sub_f32 v26, v31, v34 :: v_dual_add_f32 v31, 0xbf2aaaaa, v35
	v_fma_f32 v34, v32, v28, -v36
	s_delay_alu instid0(VALU_DEP_2) | instskip(NEXT) | instid1(VALU_DEP_2)
	v_dual_add_f32 v26, 0x31739010, v26 :: v_dual_sub_f32 v31, v33, v31
	v_fmac_f32_e32 v34, v32, v29
	v_ldexp_f32 v29, v29, 1
	s_delay_alu instid0(VALU_DEP_3) | instskip(NEXT) | instid1(VALU_DEP_3)
	v_add_f32_e32 v26, v26, v31
	v_fmac_f32_e32 v34, v30, v28
	s_delay_alu instid0(VALU_DEP_2) | instskip(NEXT) | instid1(VALU_DEP_2)
	v_add_f32_e32 v30, v35, v26
	v_add_f32_e32 v31, v36, v34
	s_delay_alu instid0(VALU_DEP_2) | instskip(NEXT) | instid1(VALU_DEP_2)
	v_sub_f32_e32 v32, v35, v30
	v_mul_f32_e32 v33, v31, v30
	v_sub_f32_e32 v35, v31, v36
	s_delay_alu instid0(VALU_DEP_3) | instskip(NEXT) | instid1(VALU_DEP_3)
	v_add_f32_e32 v26, v26, v32
	v_fma_f32 v32, v31, v30, -v33
	s_delay_alu instid0(VALU_DEP_3) | instskip(NEXT) | instid1(VALU_DEP_2)
	v_sub_f32_e32 v34, v34, v35
	v_fmac_f32_e32 v32, v31, v26
	v_subrev_co_ci_u32_e64 v25, s1, 0, v25, s1
	v_ldexp_f32 v26, v28, 1
	s_delay_alu instid0(VALU_DEP_3) | instskip(NEXT) | instid1(VALU_DEP_3)
	v_fmac_f32_e32 v32, v34, v30
	v_cvt_f32_i32_e32 v25, v25
	s_delay_alu instid0(VALU_DEP_2) | instskip(NEXT) | instid1(VALU_DEP_1)
	v_add_f32_e32 v28, v33, v32
	v_dual_add_f32 v30, v26, v28 :: v_dual_sub_f32 v31, v28, v33
	s_delay_alu instid0(VALU_DEP_1) | instskip(NEXT) | instid1(VALU_DEP_2)
	v_dual_mul_f32 v33, 0x3f317218, v25 :: v_dual_sub_f32 v26, v30, v26
	v_sub_f32_e32 v31, v32, v31
	s_delay_alu instid0(VALU_DEP_2) | instskip(NEXT) | instid1(VALU_DEP_3)
	v_fma_f32 v32, 0x3f317218, v25, -v33
	v_sub_f32_e32 v26, v28, v26
	s_delay_alu instid0(VALU_DEP_3) | instskip(NEXT) | instid1(VALU_DEP_1)
	v_add_f32_e32 v28, v29, v31
	v_dual_fmac_f32 v32, 0xb102e308, v25 :: v_dual_add_f32 v25, v28, v26
	s_delay_alu instid0(VALU_DEP_1) | instskip(NEXT) | instid1(VALU_DEP_2)
	v_add_f32_e32 v26, v33, v32
	v_add_f32_e32 v28, v30, v25
	s_delay_alu instid0(VALU_DEP_2) | instskip(NEXT) | instid1(VALU_DEP_2)
	v_sub_f32_e32 v33, v26, v33
	v_dual_add_f32 v29, v26, v28 :: v_dual_sub_f32 v30, v28, v30
	s_delay_alu instid0(VALU_DEP_1) | instskip(NEXT) | instid1(VALU_DEP_2)
	v_dual_sub_f32 v32, v32, v33 :: v_dual_sub_f32 v31, v29, v26
	v_sub_f32_e32 v25, v25, v30
	s_delay_alu instid0(VALU_DEP_2) | instskip(SKIP_1) | instid1(VALU_DEP_3)
	v_sub_f32_e32 v34, v29, v31
	v_sub_f32_e32 v28, v28, v31
	v_add_f32_e32 v30, v32, v25
	s_delay_alu instid0(VALU_DEP_3) | instskip(NEXT) | instid1(VALU_DEP_1)
	v_sub_f32_e32 v26, v26, v34
	v_add_f32_e32 v26, v28, v26
	s_delay_alu instid0(VALU_DEP_3) | instskip(NEXT) | instid1(VALU_DEP_2)
	v_sub_f32_e32 v28, v30, v32
	v_add_f32_e32 v26, v30, v26
	s_delay_alu instid0(VALU_DEP_2) | instskip(SKIP_1) | instid1(VALU_DEP_3)
	v_sub_f32_e32 v30, v30, v28
	v_sub_f32_e32 v25, v25, v28
	v_add_f32_e32 v31, v29, v26
	s_delay_alu instid0(VALU_DEP_1) | instskip(NEXT) | instid1(VALU_DEP_1)
	v_dual_sub_f32 v28, v32, v30 :: v_dual_sub_f32 v29, v31, v29
	v_dual_add_f32 v25, v25, v28 :: v_dual_sub_f32 v26, v26, v29
	s_delay_alu instid0(VALU_DEP_1) | instskip(NEXT) | instid1(VALU_DEP_1)
	v_add_f32_e32 v25, v25, v26
	v_add_f32_e32 v26, v31, v25
	s_delay_alu instid0(VALU_DEP_1) | instskip(NEXT) | instid1(VALU_DEP_1)
	v_dual_sub_f32 v28, v26, v31 :: v_dual_mul_f32 v29, v27, v26
	v_sub_f32_e32 v25, v25, v28
	s_delay_alu instid0(VALU_DEP_2) | instskip(SKIP_1) | instid1(VALU_DEP_2)
	v_fma_f32 v26, v27, v26, -v29
	v_cmp_class_f32_e64 s1, v29, 0x204
	v_fmac_f32_e32 v26, v27, v25
	s_delay_alu instid0(VALU_DEP_1) | instskip(NEXT) | instid1(VALU_DEP_1)
	v_add_f32_e32 v25, v29, v26
	v_cndmask_b32_e64 v28, v25, v29, s1
	v_sub_f32_e32 v25, v25, v29
	s_delay_alu instid0(VALU_DEP_2) | instskip(NEXT) | instid1(VALU_DEP_2)
	v_cmp_eq_f32_e64 s1, 0x42b17218, v28
	v_sub_f32_e32 v25, v26, v25
	s_delay_alu instid0(VALU_DEP_2) | instskip(SKIP_1) | instid1(VALU_DEP_2)
	v_cndmask_b32_e64 v30, 0, 0x37000000, s1
	v_cmp_neq_f32_e64 s1, 0x7f800000, |v28|
	v_sub_f32_e32 v31, v28, v30
	s_delay_alu instid0(VALU_DEP_2) | instskip(NEXT) | instid1(VALU_DEP_2)
	v_cndmask_b32_e64 v25, 0, v25, s1
	v_mul_f32_e32 v32, 0x3fb8aa3b, v31
	v_cmp_ngt_f32_e64 s1, 0xc2ce8ed0, v31
	s_delay_alu instid0(VALU_DEP_3) | instskip(NEXT) | instid1(VALU_DEP_3)
	v_add_f32_e32 v25, v30, v25
	v_fma_f32 v33, 0x3fb8aa3b, v31, -v32
	v_rndne_f32_e32 v34, v32
	s_delay_alu instid0(VALU_DEP_1) | instskip(SKIP_1) | instid1(VALU_DEP_2)
	v_dual_fmac_f32 v33, 0x32a5705f, v31 :: v_dual_sub_f32 v32, v32, v34
	v_cvt_i32_f32_e32 v29, v34
	v_add_f32_e32 v32, v32, v33
	s_delay_alu instid0(VALU_DEP_1) | instskip(SKIP_2) | instid1(VALU_DEP_1)
	v_exp_f32_e32 v32, v32
	s_waitcnt_depctr 0xfff
	v_ldexp_f32 v26, v32, v29
	v_cndmask_b32_e64 v26, 0, v26, s1
	v_cmp_nlt_f32_e64 s1, 0x42b17218, v31
	s_delay_alu instid0(VALU_DEP_1) | instskip(SKIP_1) | instid1(VALU_DEP_2)
	v_cndmask_b32_e64 v26, 0x7f800000, v26, s1
	v_cmp_eq_f32_e64 s1, v27, |v27|
	v_fma_f32 v25, v26, v25, v26
	s_delay_alu instid0(VALU_DEP_2) | instskip(SKIP_1) | instid1(VALU_DEP_2)
	v_cndmask_b32_e64 v28, 0, |v27|, s1
	v_cmp_class_f32_e64 s1, v27, 0x204
	v_cndmask_b32_e64 v28, v28, 1.0, vcc_lo
	v_cmp_class_f32_e64 vcc_lo, v26, 0x204
	v_cndmask_b32_e32 v25, v25, v26, vcc_lo
	s_delay_alu instid0(VALU_DEP_1) | instskip(NEXT) | instid1(VALU_DEP_1)
	v_cndmask_b32_e64 v25, |v25|, v28, s1
	v_div_scale_f32 v26, null, v25, v25, 1.0
	v_div_scale_f32 v29, vcc_lo, 1.0, v25, 1.0
	s_delay_alu instid0(VALU_DEP_2) | instskip(SKIP_2) | instid1(VALU_DEP_1)
	v_rcp_f32_e32 v27, v26
	s_waitcnt_depctr 0xfff
	v_fma_f32 v28, -v26, v27, 1.0
	v_fmac_f32_e32 v27, v28, v27
	s_delay_alu instid0(VALU_DEP_1) | instskip(NEXT) | instid1(VALU_DEP_1)
	v_mul_f32_e32 v28, v29, v27
	v_fma_f32 v30, -v26, v28, v29
	s_delay_alu instid0(VALU_DEP_1) | instskip(NEXT) | instid1(VALU_DEP_1)
	v_fmac_f32_e32 v28, v30, v27
	v_fma_f32 v26, -v26, v28, v29
	s_delay_alu instid0(VALU_DEP_1) | instskip(SKIP_1) | instid1(VALU_DEP_2)
	v_div_fmas_f32 v26, v26, v27, v28
	v_mov_b32_e32 v27, v7
	v_div_fixup_f32 v25, v26, v25, 1.0
	v_mov_b32_e32 v26, v8
	s_delay_alu instid0(VALU_DEP_2) | instskip(NEXT) | instid1(VALU_DEP_1)
	v_dual_mul_f32 v22, v22, v25 :: v_dual_mov_b32 v25, v9
	v_fmac_f32_e32 v21, v24, v22
.LBB0_40:                               ;   in Loop: Header=BB0_41 Depth=1
	s_or_b32 exec_lo, exec_lo, s7
	s_add_i32 s4, s4, 1
	s_add_i32 s6, s6, 52
	v_cmp_eq_u32_e32 vcc_lo, s4, v173
	s_or_b32 s2, vcc_lo, s2
	s_delay_alu instid0(SALU_CYCLE_1)
	s_and_not1_b32 exec_lo, exec_lo, s2
	s_cbranch_execz .LBB0_48
.LBB0_41:                               ; =>This Inner Loop Header: Depth=1
	v_readfirstlane_b32 s1, v23
	s_delay_alu instid0(VALU_DEP_1) | instskip(NEXT) | instid1(SALU_CYCLE_1)
	s_add_i32 s1, s1, s6
	s_add_i32 s7, s1, 12
	scratch_load_b32 v7, off, s7
	s_mov_b32 s7, exec_lo
	s_waitcnt vmcnt(0)
	v_cmpx_ge_i32_e64 v7, v10
	s_cbranch_execz .LBB0_40
; %bb.42:                               ;   in Loop: Header=BB0_41 Depth=1
	s_add_i32 s8, s1, 48
	s_clause 0x1
	scratch_load_b32 v24, off, s8
	scratch_load_b96 v[7:9], off, s1
	s_mov_b32 s8, exec_lo
	s_waitcnt vmcnt(1)
	v_cmpx_eq_f32_e32 -1.0, v24
	s_cbranch_execz .LBB0_44
; %bb.43:                               ;   in Loop: Header=BB0_41 Depth=1
	s_add_i32 s9, s1, 32
	s_add_i32 s1, s1, 16
	s_clause 0x1
	scratch_load_b96 v[28:30], off, s9
	scratch_load_b96 v[31:33], off, s1
	s_waitcnt vmcnt(1)
	v_cmp_eq_u32_e32 vcc_lo, 31, v29
	s_waitcnt vmcnt(0)
	v_cmp_gt_i32_e64 s1, 30, v32
	v_not_b32_e32 v24, v31
	v_sub_nc_u32_e32 v31, 30, v32
	v_sub_nc_u32_e32 v30, v30, v33
	s_delay_alu instid0(VALU_DEP_4)
	s_and_b32 vcc_lo, vcc_lo, s1
	s_delay_alu instid0(VALU_DEP_3) | instid1(SALU_CYCLE_1)
	v_add_co_ci_u32_e64 v28, s1, v28, v24, vcc_lo
	s_delay_alu instid0(VALU_DEP_3) | instskip(SKIP_1) | instid1(VALU_DEP_3)
	v_max_i32_e32 v24, 0, v31
	v_min_i32_e32 v31, 30, v29
	v_mul_lo_u32 v32, v28, 30
	s_delay_alu instid0(VALU_DEP_3) | instskip(NEXT) | instid1(VALU_DEP_3)
	v_mad_u64_u32 v[28:29], null, 0x168, v30, v[24:25]
	v_cndmask_b32_e64 v24, v31, 1, vcc_lo
	s_delay_alu instid0(VALU_DEP_1) | instskip(NEXT) | instid1(VALU_DEP_1)
	v_add3_u32 v24, v28, v24, v32
	v_cvt_f32_i32_e32 v24, v24
	s_delay_alu instid0(VALU_DEP_1) | instskip(NEXT) | instid1(VALU_DEP_1)
	v_div_scale_f32 v28, null, 0x43b40000, 0x43b40000, v24
	v_rcp_f32_e32 v29, v28
	s_waitcnt_depctr 0xfff
	v_fma_f32 v30, -v28, v29, 1.0
	s_delay_alu instid0(VALU_DEP_1) | instskip(SKIP_1) | instid1(VALU_DEP_1)
	v_fmac_f32_e32 v29, v30, v29
	v_div_scale_f32 v30, vcc_lo, v24, 0x43b40000, v24
	v_mul_f32_e32 v31, v30, v29
	s_delay_alu instid0(VALU_DEP_1) | instskip(NEXT) | instid1(VALU_DEP_1)
	v_fma_f32 v32, -v28, v31, v30
	v_fmac_f32_e32 v31, v32, v29
	s_delay_alu instid0(VALU_DEP_1) | instskip(NEXT) | instid1(VALU_DEP_1)
	v_fma_f32 v28, -v28, v31, v30
	v_div_fmas_f32 v28, v28, v29, v31
	s_delay_alu instid0(VALU_DEP_1) | instskip(NEXT) | instid1(VALU_DEP_1)
	v_div_fixup_f32 v24, v28, 0x43b40000, v24
	v_fma_f32 v24, v160, v24, 1.0
	s_delay_alu instid0(VALU_DEP_1) | instskip(NEXT) | instid1(VALU_DEP_1)
	v_add_f32_e32 v24, -1.0, v24
	v_mul_f32_e32 v24, 0x42c80000, v24
.LBB0_44:                               ;   in Loop: Header=BB0_41 Depth=1
	s_or_b32 exec_lo, exec_lo, s8
	s_waitcnt vmcnt(0)
	v_cmp_eq_u32_e32 vcc_lo, 31, v8
	v_min_i32_e32 v28, 30, v8
	s_xor_b32 s1, s3, -1
                                        ; implicit-def: $vgpr29
	s_delay_alu instid0(SALU_CYCLE_1) | instskip(NEXT) | instid1(SALU_CYCLE_1)
	s_and_saveexec_b32 s8, s1
	s_xor_b32 s8, exec_lo, s8
	s_cbranch_execz .LBB0_46
; %bb.45:                               ;   in Loop: Header=BB0_41 Depth=1
	v_cmp_gt_i32_e64 s1, 30, v26
	v_not_b32_e32 v27, v27
	v_sub_nc_u32_e32 v26, 30, v26
	s_delay_alu instid0(VALU_DEP_3) | instskip(NEXT) | instid1(SALU_CYCLE_1)
	s_and_b32 s1, vcc_lo, s1
	v_cndmask_b32_e64 v29, 0, 1, s1
	s_delay_alu instid0(VALU_DEP_1) | instskip(SKIP_2) | instid1(VALU_DEP_3)
	v_add3_u32 v27, v7, v27, v29
	v_sub_nc_u32_e32 v29, v9, v25
	v_max_i32_e32 v25, 0, v26
	v_mul_lo_u32 v30, v27, 30
	s_delay_alu instid0(VALU_DEP_2) | instskip(SKIP_1) | instid1(VALU_DEP_1)
	v_mad_u64_u32 v[26:27], null, 0x168, v29, v[25:26]
	v_cndmask_b32_e64 v25, v28, 1, s1
                                        ; implicit-def: $vgpr28
	v_add3_u32 v29, v26, v25, v30
.LBB0_46:                               ;   in Loop: Header=BB0_41 Depth=1
	s_and_not1_saveexec_b32 s1, s8
	s_cbranch_execz .LBB0_39
; %bb.47:                               ;   in Loop: Header=BB0_41 Depth=1
	s_and_b32 s8, vcc_lo, s0
	v_sub_nc_u32_e32 v27, v9, v6
	v_cndmask_b32_e64 v25, 0, 1, s8
	s_delay_alu instid0(VALU_DEP_1) | instskip(NEXT) | instid1(VALU_DEP_1)
	v_add3_u32 v25, v7, v5, v25
	v_mul_lo_u32 v29, v25, 30
	s_delay_alu instid0(VALU_DEP_4) | instskip(SKIP_1) | instid1(VALU_DEP_1)
	v_mad_u64_u32 v[25:26], null, 0x168, v27, v[4:5]
	v_cndmask_b32_e64 v26, v28, 1, s8
	v_add3_u32 v29, v25, v26, v29
	s_branch .LBB0_39
.LBB0_48:
	s_or_b32 exec_lo, exec_lo, s2
	v_div_scale_f32 v7, null, 0x42c80000, 0x42c80000, v18
	v_div_scale_f32 v22, vcc_lo, v18, 0x42c80000, v18
	s_mov_b32 s2, 0
	s_delay_alu instid0(VALU_DEP_2) | instskip(SKIP_3) | instid1(VALU_DEP_1)
	v_rcp_f32_e32 v8, v7
	v_mov_b32_e32 v29, 0x3d4ccccd
	s_waitcnt_depctr 0xfff
	v_fma_f32 v9, -v7, v8, 1.0
	v_fmac_f32_e32 v8, v9, v8
	s_delay_alu instid0(VALU_DEP_1) | instskip(NEXT) | instid1(VALU_DEP_1)
	v_mul_f32_e32 v9, v22, v8
	v_fma_f32 v23, -v7, v9, v22
	s_delay_alu instid0(VALU_DEP_1) | instskip(NEXT) | instid1(VALU_DEP_1)
	v_fmac_f32_e32 v9, v23, v8
	v_fma_f32 v7, -v7, v9, v22
	s_delay_alu instid0(VALU_DEP_1) | instskip(NEXT) | instid1(VALU_DEP_1)
	v_div_fmas_f32 v7, v7, v8, v9
	v_div_fixup_f32 v7, v7, 0x42c80000, v18
	s_delay_alu instid0(VALU_DEP_1) | instskip(NEXT) | instid1(VALU_DEP_1)
	v_add_f32_e32 v17, v17, v7
	v_sub_f32_e32 v30, v17, v21
	s_delay_alu instid0(VALU_DEP_1) | instskip(SKIP_1) | instid1(VALU_DEP_2)
	v_mul_f32_e64 v7, 0x2441b0da, |v30|
	v_cmp_neq_f32_e32 vcc_lo, 0, v30
	v_cmp_nle_f32_e64 s1, |v30|, v7
	s_delay_alu instid0(VALU_DEP_1) | instskip(NEXT) | instid1(SALU_CYCLE_1)
	s_or_b32 s1, vcc_lo, s1
	s_and_saveexec_b32 s6, s1
	s_cbranch_execz .LBB0_174
; %bb.49:
	v_dual_mov_b32 v18, 0 :: v_dual_mov_b32 v21, 1.0
	s_movk_i32 s3, 0x230
	s_mov_b32 s4, -1
	s_mov_b32 s5, -1
	s_mov_b32 s7, 0x3e76c4e1
                                        ; implicit-def: $vgpr23
                                        ; implicit-def: $vgpr24
                                        ; implicit-def: $vgpr25
	s_branch .LBB0_52
.LBB0_50:                               ;   in Loop: Header=BB0_52 Depth=1
	s_or_b32 exec_lo, exec_lo, s1
	s_delay_alu instid0(VALU_DEP_1) | instskip(SKIP_1) | instid1(VALU_DEP_1)
	v_cvt_f32_i32_e32 v23, v27
	s_and_not1_b32 s4, s4, exec_lo
	v_div_scale_f32 v24, null, 0x43b40000, 0x43b40000, v23
	v_div_scale_f32 v27, vcc_lo, v23, 0x43b40000, v23
	s_delay_alu instid0(VALU_DEP_2) | instskip(SKIP_2) | instid1(VALU_DEP_1)
	v_rcp_f32_e32 v25, v24
	s_waitcnt_depctr 0xfff
	v_fma_f32 v26, -v24, v25, 1.0
	v_fmac_f32_e32 v25, v26, v25
	s_delay_alu instid0(VALU_DEP_1) | instskip(NEXT) | instid1(VALU_DEP_1)
	v_mul_f32_e32 v26, v27, v25
	v_fma_f32 v28, -v24, v26, v27
	s_delay_alu instid0(VALU_DEP_1) | instskip(NEXT) | instid1(VALU_DEP_1)
	v_fmac_f32_e32 v26, v28, v25
	v_fma_f32 v24, -v24, v26, v27
	s_delay_alu instid0(VALU_DEP_1) | instskip(NEXT) | instid1(VALU_DEP_1)
	v_div_fmas_f32 v24, v24, v25, v26
	v_div_fixup_f32 v23, v24, 0x43b40000, v23
	s_delay_alu instid0(VALU_DEP_1) | instskip(NEXT) | instid1(VALU_DEP_1)
	v_add_f32_e32 v25, v23, v23
	v_cmp_eq_f32_e32 vcc_lo, 0, v25
	v_cndmask_b32_e64 v23, 0x3f83851f, 1.0, vcc_lo
	s_delay_alu instid0(VALU_DEP_1) | instskip(NEXT) | instid1(VALU_DEP_1)
	v_frexp_mant_f32_e32 v24, v23
	v_cmp_gt_f32_e64 s1, 0x3f2aaaab, v24
	s_delay_alu instid0(VALU_DEP_1) | instskip(NEXT) | instid1(VALU_DEP_1)
	v_cndmask_b32_e64 v26, 1.0, 2.0, s1
	v_mul_f32_e32 v24, v24, v26
	s_delay_alu instid0(VALU_DEP_1) | instskip(NEXT) | instid1(VALU_DEP_1)
	v_add_f32_e32 v26, 1.0, v24
	v_dual_add_f32 v28, -1.0, v24 :: v_dual_add_f32 v31, -1.0, v26
	v_rcp_f32_e32 v27, v26
	s_waitcnt_depctr 0xfff
	v_mul_f32_e32 v29, v28, v27
	v_sub_f32_e32 v24, v24, v31
	s_delay_alu instid0(VALU_DEP_2) | instskip(NEXT) | instid1(VALU_DEP_1)
	v_mul_f32_e32 v32, v26, v29
	v_fma_f32 v26, v29, v26, -v32
	s_delay_alu instid0(VALU_DEP_1) | instskip(NEXT) | instid1(VALU_DEP_1)
	v_fmac_f32_e32 v26, v29, v24
	v_add_f32_e32 v24, v32, v26
	s_delay_alu instid0(VALU_DEP_1) | instskip(SKIP_1) | instid1(VALU_DEP_2)
	v_sub_f32_e32 v31, v28, v24
	v_sub_f32_e32 v32, v24, v32
	;; [unrolled: 1-line block ×3, first 2 shown]
	s_delay_alu instid0(VALU_DEP_2) | instskip(NEXT) | instid1(VALU_DEP_2)
	v_sub_f32_e32 v26, v32, v26
	v_sub_f32_e32 v24, v28, v24
	s_delay_alu instid0(VALU_DEP_1) | instskip(NEXT) | instid1(VALU_DEP_1)
	v_add_f32_e32 v24, v26, v24
	v_add_f32_e32 v24, v31, v24
	s_delay_alu instid0(VALU_DEP_1) | instskip(NEXT) | instid1(VALU_DEP_1)
	v_mul_f32_e32 v24, v27, v24
	v_add_f32_e32 v26, v29, v24
	s_delay_alu instid0(VALU_DEP_1) | instskip(NEXT) | instid1(VALU_DEP_1)
	v_sub_f32_e32 v27, v26, v29
	v_dual_mul_f32 v28, v26, v26 :: v_dual_sub_f32 v27, v24, v27
	s_delay_alu instid0(VALU_DEP_1) | instskip(NEXT) | instid1(VALU_DEP_2)
	v_fma_f32 v29, v26, v26, -v28
	v_add_f32_e32 v24, v27, v27
	s_delay_alu instid0(VALU_DEP_1) | instskip(SKIP_1) | instid1(VALU_DEP_2)
	v_fmac_f32_e32 v29, v26, v24
	v_cvt_f64_f32_e32 v[23:24], v23
	v_add_f32_e32 v31, v28, v29
	s_delay_alu instid0(VALU_DEP_1) | instskip(NEXT) | instid1(VALU_DEP_1)
	v_fmaak_f32 v32, s7, v31, 0x3e91f4c4
	v_dual_mul_f32 v35, v26, v31 :: v_dual_fmaak_f32 v32, v31, v32, 0x3ecccdef
	s_delay_alu instid0(VALU_DEP_1) | instskip(SKIP_1) | instid1(VALU_DEP_1)
	v_mul_f32_e32 v33, v31, v32
	v_frexp_exp_i32_f64_e32 v23, v[23:24]
	v_subrev_co_ci_u32_e64 v23, s1, 0, v23, s1
	s_delay_alu instid0(VALU_DEP_1) | instskip(SKIP_1) | instid1(VALU_DEP_1)
	v_cvt_f32_i32_e32 v23, v23
	v_sub_f32_e32 v28, v31, v28
	v_sub_f32_e32 v28, v29, v28
	v_fma_f32 v29, v31, v32, -v33
	s_delay_alu instid0(VALU_DEP_1) | instskip(NEXT) | instid1(VALU_DEP_1)
	v_fmac_f32_e32 v29, v28, v32
	v_add_f32_e32 v32, v33, v29
	s_delay_alu instid0(VALU_DEP_1) | instskip(NEXT) | instid1(VALU_DEP_1)
	v_dual_sub_f32 v33, v32, v33 :: v_dual_add_f32 v34, 0x3f2aaaaa, v32
	v_dual_sub_f32 v24, v29, v33 :: v_dual_add_f32 v29, 0xbf2aaaaa, v34
	v_fma_f32 v33, v31, v26, -v35
	s_delay_alu instid0(VALU_DEP_2) | instskip(NEXT) | instid1(VALU_DEP_2)
	v_dual_add_f32 v24, 0x31739010, v24 :: v_dual_sub_f32 v29, v32, v29
	v_fmac_f32_e32 v33, v31, v27
	v_ldexp_f32 v27, v27, 1
	s_delay_alu instid0(VALU_DEP_3) | instskip(NEXT) | instid1(VALU_DEP_1)
	v_add_f32_e32 v24, v24, v29
	v_dual_fmac_f32 v33, v28, v26 :: v_dual_add_f32 v28, v34, v24
	s_delay_alu instid0(VALU_DEP_1) | instskip(NEXT) | instid1(VALU_DEP_2)
	v_add_f32_e32 v29, v35, v33
	v_sub_f32_e32 v31, v34, v28
	s_delay_alu instid0(VALU_DEP_2) | instskip(SKIP_1) | instid1(VALU_DEP_3)
	v_mul_f32_e32 v32, v29, v28
	v_sub_f32_e32 v34, v29, v35
	v_add_f32_e32 v24, v24, v31
	s_delay_alu instid0(VALU_DEP_3) | instskip(NEXT) | instid1(VALU_DEP_3)
	v_fma_f32 v31, v29, v28, -v32
	v_sub_f32_e32 v33, v33, v34
	s_delay_alu instid0(VALU_DEP_2) | instskip(SKIP_1) | instid1(VALU_DEP_2)
	v_fmac_f32_e32 v31, v29, v24
	v_ldexp_f32 v24, v26, 1
	v_fmac_f32_e32 v31, v33, v28
	s_delay_alu instid0(VALU_DEP_1) | instskip(NEXT) | instid1(VALU_DEP_1)
	v_add_f32_e32 v26, v32, v31
	v_dual_add_f32 v28, v24, v26 :: v_dual_sub_f32 v29, v26, v32
	v_mul_f32_e32 v32, 0x3f317218, v23
	s_delay_alu instid0(VALU_DEP_2) | instskip(NEXT) | instid1(VALU_DEP_2)
	v_dual_sub_f32 v24, v28, v24 :: v_dual_sub_f32 v29, v31, v29
	v_fma_f32 v31, 0x3f317218, v23, -v32
	s_delay_alu instid0(VALU_DEP_2) | instskip(NEXT) | instid1(VALU_DEP_2)
	v_sub_f32_e32 v24, v26, v24
	v_dual_add_f32 v26, v27, v29 :: v_dual_fmac_f32 v31, 0xb102e308, v23
	s_delay_alu instid0(VALU_DEP_1) | instskip(NEXT) | instid1(VALU_DEP_1)
	v_dual_add_f32 v23, v26, v24 :: v_dual_add_f32 v24, v32, v31
	v_add_f32_e32 v26, v28, v23
	s_delay_alu instid0(VALU_DEP_2) | instskip(NEXT) | instid1(VALU_DEP_2)
	v_sub_f32_e32 v32, v24, v32
	v_dual_add_f32 v27, v24, v26 :: v_dual_sub_f32 v28, v26, v28
	s_delay_alu instid0(VALU_DEP_2) | instskip(NEXT) | instid1(VALU_DEP_2)
	v_sub_f32_e32 v31, v31, v32
	v_sub_f32_e32 v29, v27, v24
	s_delay_alu instid0(VALU_DEP_3) | instskip(NEXT) | instid1(VALU_DEP_2)
	v_sub_f32_e32 v23, v23, v28
	v_sub_f32_e32 v33, v27, v29
	v_sub_f32_e32 v26, v26, v29
	s_delay_alu instid0(VALU_DEP_3) | instskip(NEXT) | instid1(VALU_DEP_3)
	v_add_f32_e32 v28, v31, v23
	v_sub_f32_e32 v24, v24, v33
	s_delay_alu instid0(VALU_DEP_1) | instskip(NEXT) | instid1(VALU_DEP_3)
	v_add_f32_e32 v24, v26, v24
	v_sub_f32_e32 v26, v28, v31
	s_delay_alu instid0(VALU_DEP_2) | instskip(NEXT) | instid1(VALU_DEP_2)
	v_add_f32_e32 v24, v28, v24
	v_sub_f32_e32 v28, v28, v26
	v_sub_f32_e32 v23, v23, v26
	s_delay_alu instid0(VALU_DEP_3) | instskip(NEXT) | instid1(VALU_DEP_1)
	v_add_f32_e32 v29, v27, v24
	v_dual_sub_f32 v26, v31, v28 :: v_dual_sub_f32 v27, v29, v27
	s_delay_alu instid0(VALU_DEP_1) | instskip(NEXT) | instid1(VALU_DEP_1)
	v_dual_add_f32 v23, v23, v26 :: v_dual_sub_f32 v24, v24, v27
	v_add_f32_e32 v23, v23, v24
	s_delay_alu instid0(VALU_DEP_1) | instskip(NEXT) | instid1(VALU_DEP_1)
	v_add_f32_e32 v24, v29, v23
	v_dual_sub_f32 v26, v24, v29 :: v_dual_mul_f32 v27, v25, v24
	s_delay_alu instid0(VALU_DEP_1) | instskip(NEXT) | instid1(VALU_DEP_2)
	v_sub_f32_e32 v23, v23, v26
	v_fma_f32 v24, v25, v24, -v27
	v_cmp_class_f32_e64 s1, v27, 0x204
	s_delay_alu instid0(VALU_DEP_2) | instskip(NEXT) | instid1(VALU_DEP_1)
	v_fmac_f32_e32 v24, v25, v23
	v_add_f32_e32 v23, v27, v24
	s_delay_alu instid0(VALU_DEP_1) | instskip(SKIP_1) | instid1(VALU_DEP_2)
	v_cndmask_b32_e64 v26, v23, v27, s1
	v_sub_f32_e32 v23, v23, v27
	v_cmp_eq_f32_e64 s1, 0x42b17218, v26
	s_delay_alu instid0(VALU_DEP_2) | instskip(NEXT) | instid1(VALU_DEP_2)
	v_sub_f32_e32 v23, v24, v23
	v_cndmask_b32_e64 v28, 0, 0x37000000, s1
	v_cmp_neq_f32_e64 s1, 0x7f800000, |v26|
	s_delay_alu instid0(VALU_DEP_2) | instskip(NEXT) | instid1(VALU_DEP_2)
	v_sub_f32_e32 v29, v26, v28
	v_cndmask_b32_e64 v23, 0, v23, s1
	s_delay_alu instid0(VALU_DEP_2) | instskip(SKIP_1) | instid1(VALU_DEP_3)
	v_mul_f32_e32 v31, 0x3fb8aa3b, v29
	v_cmp_ngt_f32_e64 s1, 0xc2ce8ed0, v29
	v_add_f32_e32 v23, v28, v23
	s_delay_alu instid0(VALU_DEP_3) | instskip(SKIP_1) | instid1(VALU_DEP_2)
	v_fma_f32 v32, 0x3fb8aa3b, v29, -v31
	v_rndne_f32_e32 v33, v31
	v_fmac_f32_e32 v32, 0x32a5705f, v29
	s_delay_alu instid0(VALU_DEP_2) | instskip(SKIP_1) | instid1(VALU_DEP_2)
	v_sub_f32_e32 v31, v31, v33
	v_cvt_i32_f32_e32 v27, v33
	v_add_f32_e32 v31, v31, v32
	s_delay_alu instid0(VALU_DEP_1) | instskip(SKIP_2) | instid1(VALU_DEP_1)
	v_exp_f32_e32 v31, v31
	s_waitcnt_depctr 0xfff
	v_ldexp_f32 v24, v31, v27
	v_cndmask_b32_e64 v24, 0, v24, s1
	v_cmp_nlt_f32_e64 s1, 0x42b17218, v29
	s_delay_alu instid0(VALU_DEP_1) | instskip(SKIP_1) | instid1(VALU_DEP_2)
	v_cndmask_b32_e64 v24, 0x7f800000, v24, s1
	v_cmp_eq_f32_e64 s1, v25, |v25|
	v_fma_f32 v23, v24, v23, v24
	s_delay_alu instid0(VALU_DEP_2) | instskip(SKIP_1) | instid1(VALU_DEP_2)
	v_cndmask_b32_e64 v26, 0, |v25|, s1
	v_cmp_class_f32_e64 s1, v25, 0x204
	v_cndmask_b32_e64 v26, v26, 1.0, vcc_lo
	v_cmp_class_f32_e64 vcc_lo, v24, 0x204
	v_cndmask_b32_e32 v23, v23, v24, vcc_lo
	s_delay_alu instid0(VALU_DEP_1) | instskip(NEXT) | instid1(VALU_DEP_1)
	v_cndmask_b32_e64 v23, |v23|, v26, s1
	v_div_scale_f32 v24, null, v23, v23, 1.0
	v_div_scale_f32 v27, vcc_lo, 1.0, v23, 1.0
	s_delay_alu instid0(VALU_DEP_2) | instskip(SKIP_2) | instid1(VALU_DEP_1)
	v_rcp_f32_e32 v25, v24
	s_waitcnt_depctr 0xfff
	v_fma_f32 v26, -v24, v25, 1.0
	v_fmac_f32_e32 v25, v26, v25
	s_delay_alu instid0(VALU_DEP_1) | instskip(NEXT) | instid1(VALU_DEP_1)
	v_mul_f32_e32 v26, v27, v25
	v_fma_f32 v28, -v24, v26, v27
	s_delay_alu instid0(VALU_DEP_1) | instskip(NEXT) | instid1(VALU_DEP_1)
	v_fmac_f32_e32 v26, v28, v25
	v_fma_f32 v24, -v24, v26, v27
	s_delay_alu instid0(VALU_DEP_1) | instskip(SKIP_1) | instid1(VALU_DEP_2)
	v_div_fmas_f32 v24, v24, v25, v26
	v_mov_b32_e32 v25, v7
	v_div_fixup_f32 v23, v24, v23, 1.0
	s_delay_alu instid0(VALU_DEP_1) | instskip(NEXT) | instid1(VALU_DEP_1)
	v_dual_mov_b32 v24, v8 :: v_dual_mul_f32 v21, v21, v23
	v_dual_mov_b32 v23, v9 :: v_dual_fmac_f32 v18, v22, v21
.LBB0_51:                               ;   in Loop: Header=BB0_52 Depth=1
	s_or_b32 exec_lo, exec_lo, s8
	s_add_i32 s5, s5, 1
	s_add_i32 s3, s3, 52
	v_cmp_eq_u32_e32 vcc_lo, s5, v173
	s_or_b32 s2, vcc_lo, s2
	s_delay_alu instid0(SALU_CYCLE_1)
	s_and_not1_b32 exec_lo, exec_lo, s2
	s_cbranch_execz .LBB0_59
.LBB0_52:                               ; =>This Inner Loop Header: Depth=1
	s_add_i32 s1, s3, 12
	s_mov_b32 s8, exec_lo
	scratch_load_b32 v7, off, s1
	s_waitcnt vmcnt(0)
	v_cmpx_ge_i32_e64 v7, v10
	s_cbranch_execz .LBB0_51
; %bb.53:                               ;   in Loop: Header=BB0_52 Depth=1
	s_add_i32 s1, s3, 48
	s_mov_b32 s9, exec_lo
	s_clause 0x1
	scratch_load_b32 v22, off, s1
	scratch_load_b96 v[7:9], off, s3
	s_waitcnt vmcnt(1)
	v_cmpx_eq_f32_e32 -1.0, v22
	s_cbranch_execz .LBB0_55
; %bb.54:                               ;   in Loop: Header=BB0_52 Depth=1
	s_add_i32 s1, s3, 32
	s_add_i32 s12, s3, 16
	s_clause 0x1
	scratch_load_b96 v[26:28], off, s1
	scratch_load_b96 v[31:33], off, s12
	s_waitcnt vmcnt(1)
	v_cmp_eq_u32_e32 vcc_lo, 31, v27
	s_waitcnt vmcnt(0)
	v_cmp_gt_i32_e64 s1, 30, v32
	v_not_b32_e32 v22, v31
	v_sub_nc_u32_e32 v29, 30, v32
	v_sub_nc_u32_e32 v28, v28, v33
	s_delay_alu instid0(VALU_DEP_4)
	s_and_b32 vcc_lo, vcc_lo, s1
	s_delay_alu instid0(VALU_DEP_3) | instid1(SALU_CYCLE_1)
	v_add_co_ci_u32_e64 v26, s1, v26, v22, vcc_lo
	s_delay_alu instid0(VALU_DEP_3) | instskip(SKIP_1) | instid1(VALU_DEP_3)
	v_max_i32_e32 v22, 0, v29
	v_min_i32_e32 v29, 30, v27
	v_mul_lo_u32 v31, v26, 30
	s_delay_alu instid0(VALU_DEP_3) | instskip(NEXT) | instid1(VALU_DEP_3)
	v_mad_u64_u32 v[26:27], null, 0x168, v28, v[22:23]
	v_cndmask_b32_e64 v22, v29, 1, vcc_lo
	s_delay_alu instid0(VALU_DEP_1) | instskip(NEXT) | instid1(VALU_DEP_1)
	v_add3_u32 v22, v26, v22, v31
	v_cvt_f32_i32_e32 v22, v22
	s_delay_alu instid0(VALU_DEP_1) | instskip(NEXT) | instid1(VALU_DEP_1)
	v_div_scale_f32 v26, null, 0x43b40000, 0x43b40000, v22
	v_rcp_f32_e32 v27, v26
	s_waitcnt_depctr 0xfff
	v_fma_f32 v28, -v26, v27, 1.0
	s_delay_alu instid0(VALU_DEP_1) | instskip(SKIP_1) | instid1(VALU_DEP_1)
	v_fmac_f32_e32 v27, v28, v27
	v_div_scale_f32 v28, vcc_lo, v22, 0x43b40000, v22
	v_mul_f32_e32 v29, v28, v27
	s_delay_alu instid0(VALU_DEP_1) | instskip(NEXT) | instid1(VALU_DEP_1)
	v_fma_f32 v31, -v26, v29, v28
	v_fmac_f32_e32 v29, v31, v27
	s_delay_alu instid0(VALU_DEP_1) | instskip(NEXT) | instid1(VALU_DEP_1)
	v_fma_f32 v26, -v26, v29, v28
	v_div_fmas_f32 v26, v26, v27, v29
	s_delay_alu instid0(VALU_DEP_1) | instskip(NEXT) | instid1(VALU_DEP_1)
	v_div_fixup_f32 v22, v26, 0x43b40000, v22
	v_fma_f32 v22, v160, v22, 1.0
	s_delay_alu instid0(VALU_DEP_1) | instskip(NEXT) | instid1(VALU_DEP_1)
	v_add_f32_e32 v22, -1.0, v22
	v_mul_f32_e32 v22, 0x42c80000, v22
.LBB0_55:                               ;   in Loop: Header=BB0_52 Depth=1
	s_or_b32 exec_lo, exec_lo, s9
	s_waitcnt vmcnt(0)
	v_cmp_eq_u32_e32 vcc_lo, 31, v8
	v_min_i32_e32 v26, 30, v8
	s_xor_b32 s1, s4, -1
                                        ; implicit-def: $vgpr27
	s_delay_alu instid0(SALU_CYCLE_1) | instskip(NEXT) | instid1(SALU_CYCLE_1)
	s_and_saveexec_b32 s9, s1
	s_xor_b32 s9, exec_lo, s9
	s_cbranch_execz .LBB0_57
; %bb.56:                               ;   in Loop: Header=BB0_52 Depth=1
	v_cmp_gt_i32_e64 s1, 30, v24
	v_not_b32_e32 v25, v25
	v_sub_nc_u32_e32 v24, 30, v24
	s_delay_alu instid0(VALU_DEP_3) | instskip(NEXT) | instid1(SALU_CYCLE_1)
	s_and_b32 s1, vcc_lo, s1
	v_cndmask_b32_e64 v27, 0, 1, s1
	s_delay_alu instid0(VALU_DEP_1) | instskip(SKIP_2) | instid1(VALU_DEP_3)
	v_add3_u32 v25, v7, v25, v27
	v_sub_nc_u32_e32 v27, v9, v23
	v_max_i32_e32 v23, 0, v24
	v_mul_lo_u32 v28, v25, 30
	s_delay_alu instid0(VALU_DEP_2) | instskip(SKIP_1) | instid1(VALU_DEP_1)
	v_mad_u64_u32 v[24:25], null, 0x168, v27, v[23:24]
	v_cndmask_b32_e64 v23, v26, 1, s1
                                        ; implicit-def: $vgpr26
	v_add3_u32 v27, v24, v23, v28
.LBB0_57:                               ;   in Loop: Header=BB0_52 Depth=1
	s_and_not1_saveexec_b32 s1, s9
	s_cbranch_execz .LBB0_50
; %bb.58:                               ;   in Loop: Header=BB0_52 Depth=1
	s_and_b32 s9, vcc_lo, s0
	v_sub_nc_u32_e32 v25, v9, v6
	v_cndmask_b32_e64 v23, 0, 1, s9
	s_delay_alu instid0(VALU_DEP_1) | instskip(NEXT) | instid1(VALU_DEP_1)
	v_add3_u32 v23, v7, v5, v23
	v_mul_lo_u32 v27, v23, 30
	s_delay_alu instid0(VALU_DEP_4) | instskip(SKIP_1) | instid1(VALU_DEP_1)
	v_mad_u64_u32 v[23:24], null, 0x168, v25, v[4:5]
	v_cndmask_b32_e64 v24, v26, 1, s9
	v_add3_u32 v27, v23, v24, v27
	s_branch .LBB0_50
.LBB0_59:
	s_or_b32 exec_lo, exec_lo, s2
	v_dual_sub_f32 v7, v17, v18 :: v_dual_mov_b32 v8, 2
	v_dual_mov_b32 v27, 0x3d6147ae :: v_dual_mov_b32 v26, -1
	v_mov_b32_e32 v28, 0x3d4ccccd
	v_mov_b32_e32 v25, 0x230
	s_mov_b32 s7, 0
	s_mov_b32 s9, 0x3e76c4e1
                                        ; implicit-def: $sgpr8
                                        ; implicit-def: $sgpr13
                                        ; implicit-def: $sgpr12
	s_branch .LBB0_63
.LBB0_60:                               ;   in Loop: Header=BB0_63 Depth=1
	s_or_b32 exec_lo, exec_lo, s27
	v_dual_sub_f32 v30, v17, v29 :: v_dual_mov_b32 v7, v24
	v_mov_b32_e32 v8, v18
	v_mov_b32_e32 v27, v22
.LBB0_61:                               ;   in Loop: Header=BB0_63 Depth=1
	s_or_b32 exec_lo, exec_lo, s25
	s_delay_alu instid0(VALU_DEP_2)
	v_cmp_lt_i32_e32 vcc_lo, 0x63, v8
	v_add_nc_u32_e32 v8, 1, v8
	s_and_not1_b32 s2, s13, exec_lo
	s_mov_b32 s1, 0
	s_and_not1_b32 s12, s12, exec_lo
	s_and_b32 s3, vcc_lo, exec_lo
	s_delay_alu instid0(SALU_CYCLE_1)
	s_or_b32 s13, s2, s3
.LBB0_62:                               ;   in Loop: Header=BB0_63 Depth=1
	s_or_b32 exec_lo, exec_lo, s24
	s_delay_alu instid0(SALU_CYCLE_1) | instskip(SKIP_4) | instid1(SALU_CYCLE_1)
	s_and_b32 s2, exec_lo, s13
	v_mov_b32_e32 v29, s1
	s_or_b32 s7, s2, s7
	s_and_not1_b32 s1, s8, exec_lo
	s_and_b32 s2, s12, exec_lo
	s_or_b32 s8, s1, s2
	s_and_not1_b32 exec_lo, exec_lo, s7
	s_cbranch_execz .LBB0_119
.LBB0_63:                               ; =>This Loop Header: Depth=1
                                        ;     Child Loop BB0_71 Depth 2
                                        ;     Child Loop BB0_85 Depth 2
	;; [unrolled: 1-line block ×4, first 2 shown]
	v_dual_mov_b32 v23, v30 :: v_dual_mov_b32 v24, v7
	v_mov_b32_e32 v21, v28
	v_mov_b32_e32 v18, v8
	s_or_b32 s12, s12, exec_lo
	s_delay_alu instid0(VALU_DEP_3) | instskip(SKIP_1) | instid1(VALU_DEP_1)
	v_dual_mov_b32 v22, v27 :: v_dual_mul_f32 v7, v24, v23
	s_or_b32 s13, s13, exec_lo
                                        ; implicit-def: $vgpr28
                                        ; implicit-def: $vgpr27
                                        ; implicit-def: $vgpr30
                                        ; implicit-def: $vgpr8
                                        ; implicit-def: $sgpr1
	v_cmp_nge_f32_e32 vcc_lo, 0, v7
                                        ; implicit-def: $vgpr7
	s_and_saveexec_b32 s24, vcc_lo
	s_cbranch_execz .LBB0_62
; %bb.64:                               ;   in Loop: Header=BB0_63 Depth=1
                                        ; implicit-def: $vgpr8
                                        ; implicit-def: $vgpr7
                                        ; implicit-def: $vgpr30
                                        ; implicit-def: $vgpr27
                                        ; implicit-def: $vgpr28
	s_mov_b32 s2, exec_lo
	v_cmpx_nlt_f32_e64 |v23|, |v24|
	s_xor_b32 s25, exec_lo, s2
	s_cbranch_execz .LBB0_108
; %bb.65:                               ;   in Loop: Header=BB0_63 Depth=1
                                        ; implicit-def: $vgpr8
                                        ; implicit-def: $vgpr7
                                        ; implicit-def: $vgpr30
                                        ; implicit-def: $vgpr27
                                        ; implicit-def: $vgpr28
	s_mov_b32 s2, exec_lo
	v_cmpx_ngt_f32_e64 |v23|, |v24|
	s_xor_b32 s26, exec_lo, s2
	s_cbranch_execz .LBB0_95
; %bb.66:                               ;   in Loop: Header=BB0_63 Depth=1
                                        ; implicit-def: $vgpr7
                                        ; implicit-def: $vgpr27
	s_mov_b32 s1, exec_lo
	v_cmpx_lt_i32_e32 0, v26
	s_xor_b32 s27, exec_lo, s1
	s_cbranch_execz .LBB0_80
; %bb.67:                               ;   in Loop: Header=BB0_63 Depth=1
	v_cmp_eq_u32_e32 vcc_lo, 1, v26
	v_dual_mov_b32 v26, 0 :: v_dual_mov_b32 v7, v24
	v_mov_b32_e32 v27, v22
	s_and_saveexec_b32 s28, vcc_lo
	s_cbranch_execz .LBB0_79
; %bb.68:                               ;   in Loop: Header=BB0_63 Depth=1
	v_dual_sub_f32 v7, v22, v21 :: v_dual_mov_b32 v28, 0
	v_readfirstlane_b32 s2, v25
	v_mov_b32_e32 v29, 1.0
	s_mov_b32 s31, -1
	s_delay_alu instid0(VALU_DEP_3) | instskip(NEXT) | instid1(VALU_DEP_3)
	v_dual_fmamk_f32 v27, v7, 0x3fcccccd, v22 :: v_dual_mov_b32 v30, v20
	s_mov_b32 s29, s2
	s_mov_b32 s30, 0
                                        ; implicit-def: $vgpr32
                                        ; implicit-def: $vgpr33
                                        ; implicit-def: $vgpr34
	s_delay_alu instid0(VALU_DEP_1) | instskip(NEXT) | instid1(VALU_DEP_1)
	v_fma_f32 v26, v27, 0.5, 1.0
	v_cmp_eq_f32_e64 s1, 1.0, v26
	s_branch .LBB0_71
.LBB0_69:                               ;   in Loop: Header=BB0_71 Depth=2
	s_or_b32 exec_lo, exec_lo, s2
	s_delay_alu instid0(VALU_DEP_1) | instskip(SKIP_1) | instid1(VALU_DEP_1)
	v_cvt_f32_i32_e32 v32, v36
	s_and_not1_b32 s31, s31, exec_lo
	v_div_scale_f32 v33, null, 0x43b40000, 0x43b40000, v32
	v_div_scale_f32 v36, vcc_lo, v32, 0x43b40000, v32
	s_delay_alu instid0(VALU_DEP_2) | instskip(SKIP_2) | instid1(VALU_DEP_1)
	v_rcp_f32_e32 v34, v33
	s_waitcnt_depctr 0xfff
	v_fma_f32 v35, -v33, v34, 1.0
	v_fmac_f32_e32 v34, v35, v34
	s_delay_alu instid0(VALU_DEP_1) | instskip(NEXT) | instid1(VALU_DEP_1)
	v_mul_f32_e32 v35, v36, v34
	v_fma_f32 v37, -v33, v35, v36
	s_delay_alu instid0(VALU_DEP_1) | instskip(NEXT) | instid1(VALU_DEP_1)
	v_fmac_f32_e32 v35, v37, v34
	v_fma_f32 v33, -v33, v35, v36
	s_delay_alu instid0(VALU_DEP_1) | instskip(NEXT) | instid1(VALU_DEP_1)
	v_div_fmas_f32 v33, v33, v34, v35
	v_div_fixup_f32 v32, v33, 0x43b40000, v32
	s_delay_alu instid0(VALU_DEP_1) | instskip(NEXT) | instid1(VALU_DEP_1)
	v_add_f32_e32 v34, v32, v32
	v_cndmask_b32_e64 v35, v34, 1.0, s1
	s_delay_alu instid0(VALU_DEP_1) | instskip(SKIP_1) | instid1(VALU_DEP_1)
	v_cmp_eq_f32_e32 vcc_lo, 0, v35
	v_cndmask_b32_e64 v36, |v26|, 1.0, vcc_lo
	v_frexp_mant_f32_e32 v32, v36
	v_cmp_gt_f32_e64 s4, 1.0, v36
	s_delay_alu instid0(VALU_DEP_2) | instskip(NEXT) | instid1(VALU_DEP_1)
	v_cmp_gt_f32_e64 s2, 0x3f2aaaab, v32
	v_cndmask_b32_e64 v33, 1.0, 2.0, s2
	s_delay_alu instid0(VALU_DEP_1) | instskip(NEXT) | instid1(VALU_DEP_1)
	v_mul_f32_e32 v32, v32, v33
	v_add_f32_e32 v33, 1.0, v32
	v_add_f32_e32 v38, -1.0, v32
	s_delay_alu instid0(VALU_DEP_2) | instskip(SKIP_3) | instid1(VALU_DEP_1)
	v_rcp_f32_e32 v37, v33
	v_add_f32_e32 v40, -1.0, v33
	s_waitcnt_depctr 0xfff
	v_mul_f32_e32 v39, v38, v37
	v_dual_mul_f32 v41, v33, v39 :: v_dual_sub_f32 v32, v32, v40
	s_delay_alu instid0(VALU_DEP_1) | instskip(NEXT) | instid1(VALU_DEP_1)
	v_fma_f32 v33, v39, v33, -v41
	v_fmac_f32_e32 v33, v39, v32
	s_delay_alu instid0(VALU_DEP_1) | instskip(NEXT) | instid1(VALU_DEP_1)
	v_add_f32_e32 v32, v41, v33
	v_dual_sub_f32 v40, v38, v32 :: v_dual_sub_f32 v41, v32, v41
	s_delay_alu instid0(VALU_DEP_1) | instskip(NEXT) | instid1(VALU_DEP_1)
	v_dual_sub_f32 v38, v38, v40 :: v_dual_sub_f32 v33, v41, v33
	v_sub_f32_e32 v32, v38, v32
	s_delay_alu instid0(VALU_DEP_1) | instskip(NEXT) | instid1(VALU_DEP_1)
	v_add_f32_e32 v32, v33, v32
	v_add_f32_e32 v32, v40, v32
	s_delay_alu instid0(VALU_DEP_1) | instskip(NEXT) | instid1(VALU_DEP_1)
	v_mul_f32_e32 v32, v37, v32
	v_add_f32_e32 v37, v39, v32
	s_delay_alu instid0(VALU_DEP_1) | instskip(SKIP_1) | instid1(VALU_DEP_1)
	v_sub_f32_e32 v33, v37, v39
	v_mul_f32_e32 v38, v37, v37
	v_fma_f32 v40, v37, v37, -v38
	s_delay_alu instid0(VALU_DEP_3) | instskip(NEXT) | instid1(VALU_DEP_1)
	v_sub_f32_e32 v39, v32, v33
	v_add_f32_e32 v32, v39, v39
	s_delay_alu instid0(VALU_DEP_1) | instskip(SKIP_1) | instid1(VALU_DEP_2)
	v_fmac_f32_e32 v40, v37, v32
	v_cvt_f64_f32_e32 v[32:33], v36
	v_add_f32_e32 v41, v38, v40
	s_delay_alu instid0(VALU_DEP_1) | instskip(SKIP_2) | instid1(VALU_DEP_1)
	v_fmaak_f32 v42, s9, v41, 0x3e91f4c4
	v_mul_f32_e32 v45, v37, v41
	v_sub_f32_e32 v38, v41, v38
	v_sub_f32_e32 v38, v40, v38
	s_delay_alu instid0(VALU_DEP_4) | instskip(NEXT) | instid1(VALU_DEP_1)
	v_fmaak_f32 v42, v41, v42, 0x3ecccdef
	v_mul_f32_e32 v43, v41, v42
	s_delay_alu instid0(VALU_DEP_1) | instskip(NEXT) | instid1(VALU_DEP_1)
	v_fma_f32 v40, v41, v42, -v43
	v_fmac_f32_e32 v40, v38, v42
	s_delay_alu instid0(VALU_DEP_1) | instskip(SKIP_1) | instid1(VALU_DEP_2)
	v_add_f32_e32 v42, v43, v40
	v_frexp_exp_i32_f64_e32 v32, v[32:33]
	v_sub_f32_e32 v43, v42, v43
	s_delay_alu instid0(VALU_DEP_1) | instskip(SKIP_1) | instid1(VALU_DEP_2)
	v_sub_f32_e32 v33, v40, v43
	v_fma_f32 v43, v41, v37, -v45
	v_add_f32_e32 v33, 0x31739010, v33
	s_delay_alu instid0(VALU_DEP_2) | instskip(SKIP_1) | instid1(VALU_DEP_2)
	v_dual_add_f32 v44, 0x3f2aaaaa, v42 :: v_dual_fmac_f32 v43, v41, v39
	v_ldexp_f32 v39, v39, 1
	v_dual_add_f32 v40, 0xbf2aaaaa, v44 :: v_dual_fmac_f32 v43, v38, v37
	s_delay_alu instid0(VALU_DEP_1) | instskip(NEXT) | instid1(VALU_DEP_1)
	v_sub_f32_e32 v40, v42, v40
	v_add_f32_e32 v33, v33, v40
	s_delay_alu instid0(VALU_DEP_3) | instskip(NEXT) | instid1(VALU_DEP_2)
	v_add_f32_e32 v40, v45, v43
	v_add_f32_e32 v38, v44, v33
	v_subrev_co_ci_u32_e64 v32, s2, 0, v32, s2
	s_delay_alu instid0(VALU_DEP_2) | instskip(NEXT) | instid1(VALU_DEP_4)
	v_sub_f32_e32 v41, v44, v38
	v_mul_f32_e32 v42, v40, v38
	s_delay_alu instid0(VALU_DEP_3) | instskip(SKIP_1) | instid1(VALU_DEP_4)
	v_cvt_f32_i32_e32 v32, v32
	v_sub_f32_e32 v44, v40, v45
	v_add_f32_e32 v33, v33, v41
	s_delay_alu instid0(VALU_DEP_4) | instskip(NEXT) | instid1(VALU_DEP_3)
	v_fma_f32 v41, v40, v38, -v42
	v_sub_f32_e32 v43, v43, v44
	s_delay_alu instid0(VALU_DEP_2) | instskip(SKIP_1) | instid1(VALU_DEP_2)
	v_fmac_f32_e32 v41, v40, v33
	v_ldexp_f32 v33, v37, 1
	v_fmac_f32_e32 v41, v43, v38
	s_delay_alu instid0(VALU_DEP_1) | instskip(NEXT) | instid1(VALU_DEP_1)
	v_add_f32_e32 v37, v42, v41
	v_add_f32_e32 v38, v33, v37
	s_delay_alu instid0(VALU_DEP_1) | instskip(NEXT) | instid1(VALU_DEP_1)
	v_dual_sub_f32 v33, v38, v33 :: v_dual_sub_f32 v40, v37, v42
	v_dual_mul_f32 v42, 0x3f317218, v32 :: v_dual_sub_f32 v33, v37, v33
	s_delay_alu instid0(VALU_DEP_2) | instskip(NEXT) | instid1(VALU_DEP_2)
	v_sub_f32_e32 v40, v41, v40
	v_fma_f32 v41, 0x3f317218, v32, -v42
	s_delay_alu instid0(VALU_DEP_2) | instskip(NEXT) | instid1(VALU_DEP_1)
	v_add_f32_e32 v37, v39, v40
	v_dual_fmac_f32 v41, 0xb102e308, v32 :: v_dual_add_f32 v32, v37, v33
	s_delay_alu instid0(VALU_DEP_1) | instskip(NEXT) | instid1(VALU_DEP_2)
	v_add_f32_e32 v33, v42, v41
	v_add_f32_e32 v37, v38, v32
	s_delay_alu instid0(VALU_DEP_1) | instskip(SKIP_1) | instid1(VALU_DEP_1)
	v_add_f32_e32 v39, v33, v37
	v_sub_f32_e32 v42, v33, v42
	v_dual_sub_f32 v40, v39, v33 :: v_dual_sub_f32 v41, v41, v42
	s_delay_alu instid0(VALU_DEP_1) | instskip(NEXT) | instid1(VALU_DEP_1)
	v_dual_sub_f32 v43, v39, v40 :: v_dual_sub_f32 v38, v37, v38
	v_dual_sub_f32 v37, v37, v40 :: v_dual_sub_f32 v32, v32, v38
	s_delay_alu instid0(VALU_DEP_2) | instskip(NEXT) | instid1(VALU_DEP_2)
	v_sub_f32_e32 v33, v33, v43
	v_add_f32_e32 v38, v41, v32
	s_delay_alu instid0(VALU_DEP_2) | instskip(NEXT) | instid1(VALU_DEP_2)
	v_add_f32_e32 v33, v37, v33
	v_sub_f32_e32 v37, v38, v41
	s_delay_alu instid0(VALU_DEP_2) | instskip(NEXT) | instid1(VALU_DEP_2)
	v_add_f32_e32 v33, v38, v33
	v_sub_f32_e32 v38, v38, v37
	s_delay_alu instid0(VALU_DEP_2) | instskip(NEXT) | instid1(VALU_DEP_2)
	v_add_f32_e32 v40, v39, v33
	v_dual_sub_f32 v32, v32, v37 :: v_dual_sub_f32 v37, v41, v38
	s_delay_alu instid0(VALU_DEP_2) | instskip(NEXT) | instid1(VALU_DEP_1)
	v_sub_f32_e32 v38, v40, v39
	v_dual_add_f32 v32, v32, v37 :: v_dual_sub_f32 v33, v33, v38
	s_delay_alu instid0(VALU_DEP_1) | instskip(NEXT) | instid1(VALU_DEP_1)
	v_add_f32_e32 v32, v32, v33
	v_add_f32_e32 v33, v40, v32
	s_delay_alu instid0(VALU_DEP_1) | instskip(NEXT) | instid1(VALU_DEP_1)
	v_dual_sub_f32 v37, v33, v40 :: v_dual_mul_f32 v38, v35, v33
	v_sub_f32_e32 v32, v32, v37
	s_delay_alu instid0(VALU_DEP_2) | instskip(SKIP_1) | instid1(VALU_DEP_2)
	v_fma_f32 v33, v35, v33, -v38
	v_cmp_class_f32_e64 s2, v38, 0x204
	v_fmac_f32_e32 v33, v35, v32
	s_delay_alu instid0(VALU_DEP_1) | instskip(NEXT) | instid1(VALU_DEP_1)
	v_add_f32_e32 v32, v38, v33
	v_cndmask_b32_e64 v37, v32, v38, s2
	s_delay_alu instid0(VALU_DEP_1) | instskip(NEXT) | instid1(VALU_DEP_1)
	v_cmp_eq_f32_e64 s2, 0x42b17218, v37
	v_cndmask_b32_e64 v39, 0, 0x37000000, s2
	v_cmp_neq_f32_e64 s2, 0x7f800000, |v37|
	s_delay_alu instid0(VALU_DEP_2) | instskip(SKIP_1) | instid1(VALU_DEP_2)
	v_sub_f32_e32 v40, v37, v39
	v_trunc_f32_e32 v37, v35
	v_mul_f32_e32 v41, 0x3fb8aa3b, v40
	s_delay_alu instid0(VALU_DEP_1) | instskip(SKIP_1) | instid1(VALU_DEP_1)
	v_fma_f32 v42, 0x3fb8aa3b, v40, -v41
	v_rndne_f32_e32 v43, v41
	v_dual_fmac_f32 v42, 0x32a5705f, v40 :: v_dual_sub_f32 v41, v41, v43
	v_sub_f32_e32 v32, v32, v38
	v_cvt_i32_f32_e32 v38, v43
	s_delay_alu instid0(VALU_DEP_3) | instskip(NEXT) | instid1(VALU_DEP_3)
	v_add_f32_e32 v41, v41, v42
	v_sub_f32_e32 v32, v33, v32
	v_cndmask_b32_e64 v33, |v34|, 1.0, s1
	s_delay_alu instid0(VALU_DEP_3) | instskip(NEXT) | instid1(VALU_DEP_2)
	v_exp_f32_e32 v41, v41
	v_cndmask_b32_e64 v32, 0, v32, s2
	v_cmp_ngt_f32_e64 s2, 0xc2ce8ed0, v40
	s_delay_alu instid0(VALU_DEP_2) | instskip(SKIP_3) | instid1(VALU_DEP_2)
	v_add_f32_e32 v32, v39, v32
	s_waitcnt_depctr 0xfff
	v_ldexp_f32 v34, v41, v38
	v_mul_f32_e32 v38, 0.5, v35
	v_cndmask_b32_e64 v34, 0, v34, s2
	v_cmp_nlt_f32_e64 s2, 0x42b17218, v40
	s_delay_alu instid0(VALU_DEP_3) | instskip(NEXT) | instid1(VALU_DEP_2)
	v_trunc_f32_e32 v41, v38
	v_cndmask_b32_e64 v34, 0x7f800000, v34, s2
	v_cmp_eq_f32_e64 s2, v37, v35
	s_delay_alu instid0(VALU_DEP_3)
	v_cmp_neq_f32_e64 s3, v41, v38
	v_cndmask_b32_e64 v37, v26, 1.0, vcc_lo
	v_cmp_neq_f32_e32 vcc_lo, v35, v33
	v_fma_f32 v32, v34, v32, v34
	v_cmp_class_f32_e64 s5, v34, 0x204
	s_and_b32 s3, s2, s3
	s_delay_alu instid0(SALU_CYCLE_1) | instskip(SKIP_1) | instid1(VALU_DEP_2)
	v_cndmask_b32_e64 v38, 1.0, v37, s3
	s_xor_b32 s4, vcc_lo, s4
	v_cndmask_b32_e64 v32, v32, v34, s5
	v_cmp_gt_f32_e64 s5, 0, v35
	v_cmp_eq_f32_e32 vcc_lo, 0, v37
	v_cndmask_b32_e64 v34, v33, 0, s4
	v_cmp_eq_f32_e64 s4, 1.0, v36
	v_bfi_b32 v32, 0x7fffffff, v32, v38
	v_cndmask_b32_e64 v39, 0, v37, s3
	v_cmp_eq_f32_e64 s3, 0x7f800000, v33
	s_delay_alu instid0(VALU_DEP_4) | instskip(NEXT) | instid1(VALU_DEP_4)
	v_cndmask_b32_e64 v34, v34, v36, s4
	v_cndmask_b32_e64 v35, 0x7fc00000, v32, s2
	s_xor_b32 s2, s5, vcc_lo
	s_delay_alu instid0(SALU_CYCLE_1) | instskip(SKIP_1) | instid1(VALU_DEP_1)
	v_cndmask_b32_e64 v38, 0x7f800000, 0, s2
	v_cmp_gt_f32_e64 s2, 0, v37
	v_cndmask_b32_e64 v32, v32, v35, s2
	v_cmp_eq_f32_e64 s2, 0x7f800000, v36
	s_delay_alu instid0(VALU_DEP_4) | instskip(NEXT) | instid1(VALU_DEP_3)
	v_bfi_b32 v35, 0x7fffffff, v38, v39
	v_cndmask_b32_e64 v32, v32, v34, s3
	s_delay_alu instid0(VALU_DEP_3) | instskip(NEXT) | instid1(VALU_DEP_1)
	s_or_b32 vcc_lo, s2, vcc_lo
	v_cndmask_b32_e32 v32, v32, v35, vcc_lo
	s_delay_alu instid0(VALU_DEP_1) | instskip(SKIP_1) | instid1(VALU_DEP_2)
	v_div_scale_f32 v33, null, v32, v32, 1.0
	v_div_scale_f32 v36, vcc_lo, 1.0, v32, 1.0
	v_rcp_f32_e32 v34, v33
	s_waitcnt_depctr 0xfff
	v_fma_f32 v35, -v33, v34, 1.0
	s_delay_alu instid0(VALU_DEP_1) | instskip(NEXT) | instid1(VALU_DEP_1)
	v_fmac_f32_e32 v34, v35, v34
	v_mul_f32_e32 v35, v36, v34
	s_delay_alu instid0(VALU_DEP_1) | instskip(NEXT) | instid1(VALU_DEP_1)
	v_fma_f32 v38, -v33, v35, v36
	v_fmac_f32_e32 v35, v38, v34
	s_delay_alu instid0(VALU_DEP_1) | instskip(NEXT) | instid1(VALU_DEP_1)
	v_fma_f32 v33, -v33, v35, v36
	v_div_fmas_f32 v33, v33, v34, v35
	v_cmp_o_f32_e32 vcc_lo, v37, v37
	v_mov_b32_e32 v34, v7
	s_delay_alu instid0(VALU_DEP_3) | instskip(NEXT) | instid1(VALU_DEP_1)
	v_div_fixup_f32 v32, v33, v32, 1.0
	v_dual_mov_b32 v33, v8 :: v_dual_cndmask_b32 v32, 0x7fc00000, v32
	s_delay_alu instid0(VALU_DEP_1) | instskip(SKIP_1) | instid1(VALU_DEP_2)
	v_mul_f32_e32 v29, v29, v32
	v_mov_b32_e32 v32, v9
	v_fmac_f32_e32 v28, v31, v29
.LBB0_70:                               ;   in Loop: Header=BB0_71 Depth=2
	s_or_b32 exec_lo, exec_lo, s33
	v_add_nc_u32_e32 v30, -1, v30
	s_add_i32 s29, s29, 52
	s_delay_alu instid0(VALU_DEP_1) | instskip(SKIP_1) | instid1(SALU_CYCLE_1)
	v_cmp_eq_u32_e32 vcc_lo, 0, v30
	s_or_b32 s30, vcc_lo, s30
	s_and_not1_b32 exec_lo, exec_lo, s30
	s_cbranch_execz .LBB0_78
.LBB0_71:                               ;   Parent Loop BB0_63 Depth=1
                                        ; =>  This Inner Loop Header: Depth=2
	s_add_i32 s2, s29, 12
	s_mov_b32 s33, exec_lo
	scratch_load_b32 v7, off, s2
	s_waitcnt vmcnt(0)
	v_cmpx_ge_i32_e64 v7, v10
	s_cbranch_execz .LBB0_70
; %bb.72:                               ;   in Loop: Header=BB0_71 Depth=2
	s_add_i32 s2, s29, 48
	s_mov_b32 s3, exec_lo
	s_clause 0x1
	scratch_load_b32 v31, off, s2
	scratch_load_b96 v[7:9], off, s29
	s_waitcnt vmcnt(1)
	v_cmpx_eq_f32_e32 -1.0, v31
	s_cbranch_execz .LBB0_74
; %bb.73:                               ;   in Loop: Header=BB0_71 Depth=2
	s_add_i32 s2, s29, 32
	s_add_i32 s4, s29, 16
	s_clause 0x1
	scratch_load_b96 v[35:37], off, s2
	scratch_load_b96 v[38:40], off, s4
	s_waitcnt vmcnt(1)
	v_cmp_eq_u32_e32 vcc_lo, 31, v36
	s_waitcnt vmcnt(0)
	v_cmp_gt_i32_e64 s2, 30, v39
	v_not_b32_e32 v31, v38
	v_sub_nc_u32_e32 v38, 30, v39
	v_sub_nc_u32_e32 v37, v37, v40
	s_delay_alu instid0(VALU_DEP_4)
	s_and_b32 vcc_lo, vcc_lo, s2
	s_delay_alu instid0(VALU_DEP_3) | instid1(SALU_CYCLE_1)
	v_add_co_ci_u32_e64 v35, s2, v35, v31, vcc_lo
	s_delay_alu instid0(VALU_DEP_3) | instskip(SKIP_1) | instid1(VALU_DEP_3)
	v_max_i32_e32 v31, 0, v38
	v_min_i32_e32 v38, 30, v36
	v_mul_lo_u32 v39, v35, 30
	s_delay_alu instid0(VALU_DEP_3) | instskip(NEXT) | instid1(VALU_DEP_3)
	v_mad_u64_u32 v[35:36], null, 0x168, v37, v[31:32]
	v_cndmask_b32_e64 v31, v38, 1, vcc_lo
	s_delay_alu instid0(VALU_DEP_1) | instskip(NEXT) | instid1(VALU_DEP_1)
	v_add3_u32 v31, v35, v31, v39
	v_cvt_f32_i32_e32 v31, v31
	s_delay_alu instid0(VALU_DEP_1) | instskip(NEXT) | instid1(VALU_DEP_1)
	v_div_scale_f32 v35, null, 0x43b40000, 0x43b40000, v31
	v_rcp_f32_e32 v36, v35
	s_waitcnt_depctr 0xfff
	v_fma_f32 v37, -v35, v36, 1.0
	s_delay_alu instid0(VALU_DEP_1) | instskip(SKIP_1) | instid1(VALU_DEP_1)
	v_fmac_f32_e32 v36, v37, v36
	v_div_scale_f32 v37, vcc_lo, v31, 0x43b40000, v31
	v_mul_f32_e32 v38, v37, v36
	s_delay_alu instid0(VALU_DEP_1) | instskip(NEXT) | instid1(VALU_DEP_1)
	v_fma_f32 v39, -v35, v38, v37
	v_fmac_f32_e32 v38, v39, v36
	s_delay_alu instid0(VALU_DEP_1) | instskip(NEXT) | instid1(VALU_DEP_1)
	v_fma_f32 v35, -v35, v38, v37
	v_div_fmas_f32 v35, v35, v36, v38
	s_delay_alu instid0(VALU_DEP_1) | instskip(NEXT) | instid1(VALU_DEP_1)
	v_div_fixup_f32 v31, v35, 0x43b40000, v31
	v_fma_f32 v31, v160, v31, 1.0
	s_delay_alu instid0(VALU_DEP_1) | instskip(NEXT) | instid1(VALU_DEP_1)
	v_add_f32_e32 v31, -1.0, v31
	v_mul_f32_e32 v31, 0x42c80000, v31
.LBB0_74:                               ;   in Loop: Header=BB0_71 Depth=2
	s_or_b32 exec_lo, exec_lo, s3
	s_waitcnt vmcnt(0)
	v_cmp_eq_u32_e32 vcc_lo, 31, v8
	v_min_i32_e32 v35, 30, v8
	s_xor_b32 s2, s31, -1
                                        ; implicit-def: $vgpr36
	s_delay_alu instid0(SALU_CYCLE_1) | instskip(NEXT) | instid1(SALU_CYCLE_1)
	s_and_saveexec_b32 s3, s2
	s_xor_b32 s3, exec_lo, s3
	s_cbranch_execz .LBB0_76
; %bb.75:                               ;   in Loop: Header=BB0_71 Depth=2
	v_cmp_gt_i32_e64 s2, 30, v33
	v_not_b32_e32 v34, v34
	v_sub_nc_u32_e32 v33, 30, v33
	s_delay_alu instid0(VALU_DEP_3) | instskip(NEXT) | instid1(SALU_CYCLE_1)
	s_and_b32 s2, vcc_lo, s2
	v_cndmask_b32_e64 v36, 0, 1, s2
	s_delay_alu instid0(VALU_DEP_1) | instskip(SKIP_2) | instid1(VALU_DEP_3)
	v_add3_u32 v34, v7, v34, v36
	v_sub_nc_u32_e32 v36, v9, v32
	v_max_i32_e32 v32, 0, v33
	v_mul_lo_u32 v37, v34, 30
	s_delay_alu instid0(VALU_DEP_2) | instskip(SKIP_1) | instid1(VALU_DEP_1)
	v_mad_u64_u32 v[33:34], null, 0x168, v36, v[32:33]
	v_cndmask_b32_e64 v32, v35, 1, s2
                                        ; implicit-def: $vgpr35
	v_add3_u32 v36, v33, v32, v37
.LBB0_76:                               ;   in Loop: Header=BB0_71 Depth=2
	s_and_not1_saveexec_b32 s2, s3
	s_cbranch_execz .LBB0_69
; %bb.77:                               ;   in Loop: Header=BB0_71 Depth=2
	s_and_b32 s3, vcc_lo, s0
	v_sub_nc_u32_e32 v34, v9, v6
	v_cndmask_b32_e64 v32, 0, 1, s3
	s_delay_alu instid0(VALU_DEP_1) | instskip(NEXT) | instid1(VALU_DEP_1)
	v_add3_u32 v32, v7, v5, v32
	v_mul_lo_u32 v36, v32, 30
	s_delay_alu instid0(VALU_DEP_4) | instskip(SKIP_1) | instid1(VALU_DEP_1)
	v_mad_u64_u32 v[32:33], null, 0x168, v34, v[4:5]
	v_cndmask_b32_e64 v33, v35, 1, s3
	v_add3_u32 v36, v32, v33, v36
	s_branch .LBB0_69
.LBB0_78:                               ;   in Loop: Header=BB0_63 Depth=1
	s_or_b32 exec_lo, exec_lo, s30
	v_dual_sub_f32 v7, v17, v28 :: v_dual_mov_b32 v26, -1
.LBB0_79:                               ;   in Loop: Header=BB0_63 Depth=1
	s_or_b32 exec_lo, exec_lo, s28
.LBB0_80:                               ;   in Loop: Header=BB0_63 Depth=1
	s_or_saveexec_b32 s27, s27
	v_mov_b32_e32 v8, v18
	v_mov_b32_e32 v30, v23
	;; [unrolled: 1-line block ×3, first 2 shown]
	s_xor_b32 exec_lo, exec_lo, s27
	s_cbranch_execz .LBB0_94
; %bb.81:                               ;   in Loop: Header=BB0_63 Depth=1
	v_cmp_eq_u32_e32 vcc_lo, -1, v26
	v_mov_b32_e32 v26, 0
	v_mov_b32_e32 v8, v18
	;; [unrolled: 1-line block ×4, first 2 shown]
	s_and_saveexec_b32 s28, vcc_lo
	s_cbranch_execz .LBB0_93
; %bb.82:                               ;   in Loop: Header=BB0_63 Depth=1
	v_dual_sub_f32 v7, v21, v22 :: v_dual_mov_b32 v30, v20
	v_readfirstlane_b32 s2, v25
	v_mov_b32_e32 v29, 1.0
	s_mov_b32 s31, -1
	s_delay_alu instid0(VALU_DEP_3) | instskip(NEXT) | instid1(VALU_DEP_3)
	v_dual_fmamk_f32 v28, v7, 0x3fcccccd, v21 :: v_dual_mov_b32 v27, 0
	s_mov_b32 s29, s2
	s_mov_b32 s30, 0
                                        ; implicit-def: $vgpr32
                                        ; implicit-def: $vgpr33
                                        ; implicit-def: $vgpr34
	s_delay_alu instid0(VALU_DEP_1) | instskip(NEXT) | instid1(VALU_DEP_1)
	v_fma_f32 v26, v28, 0.5, 1.0
	v_cmp_eq_f32_e64 s1, 1.0, v26
	s_branch .LBB0_85
.LBB0_83:                               ;   in Loop: Header=BB0_85 Depth=2
	s_or_b32 exec_lo, exec_lo, s2
	s_delay_alu instid0(VALU_DEP_1) | instskip(SKIP_1) | instid1(VALU_DEP_1)
	v_cvt_f32_i32_e32 v32, v36
	s_and_not1_b32 s31, s31, exec_lo
	v_div_scale_f32 v33, null, 0x43b40000, 0x43b40000, v32
	v_div_scale_f32 v36, vcc_lo, v32, 0x43b40000, v32
	s_delay_alu instid0(VALU_DEP_2) | instskip(SKIP_2) | instid1(VALU_DEP_1)
	v_rcp_f32_e32 v34, v33
	s_waitcnt_depctr 0xfff
	v_fma_f32 v35, -v33, v34, 1.0
	v_fmac_f32_e32 v34, v35, v34
	s_delay_alu instid0(VALU_DEP_1) | instskip(NEXT) | instid1(VALU_DEP_1)
	v_mul_f32_e32 v35, v36, v34
	v_fma_f32 v37, -v33, v35, v36
	s_delay_alu instid0(VALU_DEP_1) | instskip(NEXT) | instid1(VALU_DEP_1)
	v_fmac_f32_e32 v35, v37, v34
	v_fma_f32 v33, -v33, v35, v36
	s_delay_alu instid0(VALU_DEP_1) | instskip(NEXT) | instid1(VALU_DEP_1)
	v_div_fmas_f32 v33, v33, v34, v35
	v_div_fixup_f32 v32, v33, 0x43b40000, v32
	s_delay_alu instid0(VALU_DEP_1) | instskip(NEXT) | instid1(VALU_DEP_1)
	v_add_f32_e32 v34, v32, v32
	v_cndmask_b32_e64 v35, v34, 1.0, s1
	s_delay_alu instid0(VALU_DEP_1) | instskip(SKIP_1) | instid1(VALU_DEP_1)
	v_cmp_eq_f32_e32 vcc_lo, 0, v35
	v_cndmask_b32_e64 v36, |v26|, 1.0, vcc_lo
	v_frexp_mant_f32_e32 v32, v36
	v_cmp_gt_f32_e64 s4, 1.0, v36
	s_delay_alu instid0(VALU_DEP_2) | instskip(NEXT) | instid1(VALU_DEP_1)
	v_cmp_gt_f32_e64 s2, 0x3f2aaaab, v32
	v_cndmask_b32_e64 v33, 1.0, 2.0, s2
	s_delay_alu instid0(VALU_DEP_1) | instskip(NEXT) | instid1(VALU_DEP_1)
	v_mul_f32_e32 v32, v32, v33
	v_add_f32_e32 v33, 1.0, v32
	v_add_f32_e32 v38, -1.0, v32
	s_delay_alu instid0(VALU_DEP_2) | instskip(SKIP_3) | instid1(VALU_DEP_1)
	v_rcp_f32_e32 v37, v33
	v_add_f32_e32 v40, -1.0, v33
	s_waitcnt_depctr 0xfff
	v_mul_f32_e32 v39, v38, v37
	v_dual_mul_f32 v41, v33, v39 :: v_dual_sub_f32 v32, v32, v40
	s_delay_alu instid0(VALU_DEP_1) | instskip(NEXT) | instid1(VALU_DEP_1)
	v_fma_f32 v33, v39, v33, -v41
	v_fmac_f32_e32 v33, v39, v32
	s_delay_alu instid0(VALU_DEP_1) | instskip(NEXT) | instid1(VALU_DEP_1)
	v_add_f32_e32 v32, v41, v33
	v_dual_sub_f32 v40, v38, v32 :: v_dual_sub_f32 v41, v32, v41
	s_delay_alu instid0(VALU_DEP_1) | instskip(NEXT) | instid1(VALU_DEP_1)
	v_dual_sub_f32 v38, v38, v40 :: v_dual_sub_f32 v33, v41, v33
	v_sub_f32_e32 v32, v38, v32
	s_delay_alu instid0(VALU_DEP_1) | instskip(NEXT) | instid1(VALU_DEP_1)
	v_add_f32_e32 v32, v33, v32
	v_add_f32_e32 v32, v40, v32
	s_delay_alu instid0(VALU_DEP_1) | instskip(NEXT) | instid1(VALU_DEP_1)
	v_mul_f32_e32 v32, v37, v32
	v_add_f32_e32 v37, v39, v32
	s_delay_alu instid0(VALU_DEP_1) | instskip(SKIP_1) | instid1(VALU_DEP_1)
	v_sub_f32_e32 v33, v37, v39
	v_mul_f32_e32 v38, v37, v37
	v_fma_f32 v40, v37, v37, -v38
	s_delay_alu instid0(VALU_DEP_3) | instskip(NEXT) | instid1(VALU_DEP_1)
	v_sub_f32_e32 v39, v32, v33
	v_add_f32_e32 v32, v39, v39
	s_delay_alu instid0(VALU_DEP_1) | instskip(SKIP_1) | instid1(VALU_DEP_2)
	v_fmac_f32_e32 v40, v37, v32
	v_cvt_f64_f32_e32 v[32:33], v36
	v_add_f32_e32 v41, v38, v40
	s_delay_alu instid0(VALU_DEP_1) | instskip(SKIP_2) | instid1(VALU_DEP_1)
	v_fmaak_f32 v42, s9, v41, 0x3e91f4c4
	v_mul_f32_e32 v45, v37, v41
	v_sub_f32_e32 v38, v41, v38
	v_sub_f32_e32 v38, v40, v38
	s_delay_alu instid0(VALU_DEP_4) | instskip(NEXT) | instid1(VALU_DEP_1)
	v_fmaak_f32 v42, v41, v42, 0x3ecccdef
	v_mul_f32_e32 v43, v41, v42
	s_delay_alu instid0(VALU_DEP_1) | instskip(NEXT) | instid1(VALU_DEP_1)
	v_fma_f32 v40, v41, v42, -v43
	v_fmac_f32_e32 v40, v38, v42
	s_delay_alu instid0(VALU_DEP_1) | instskip(SKIP_1) | instid1(VALU_DEP_2)
	v_add_f32_e32 v42, v43, v40
	v_frexp_exp_i32_f64_e32 v32, v[32:33]
	v_sub_f32_e32 v43, v42, v43
	s_delay_alu instid0(VALU_DEP_1) | instskip(SKIP_1) | instid1(VALU_DEP_2)
	v_sub_f32_e32 v33, v40, v43
	v_fma_f32 v43, v41, v37, -v45
	v_add_f32_e32 v33, 0x31739010, v33
	s_delay_alu instid0(VALU_DEP_2) | instskip(SKIP_1) | instid1(VALU_DEP_2)
	v_dual_add_f32 v44, 0x3f2aaaaa, v42 :: v_dual_fmac_f32 v43, v41, v39
	v_ldexp_f32 v39, v39, 1
	v_dual_add_f32 v40, 0xbf2aaaaa, v44 :: v_dual_fmac_f32 v43, v38, v37
	s_delay_alu instid0(VALU_DEP_1) | instskip(NEXT) | instid1(VALU_DEP_1)
	v_sub_f32_e32 v40, v42, v40
	v_add_f32_e32 v33, v33, v40
	s_delay_alu instid0(VALU_DEP_3) | instskip(NEXT) | instid1(VALU_DEP_2)
	v_add_f32_e32 v40, v45, v43
	v_add_f32_e32 v38, v44, v33
	v_subrev_co_ci_u32_e64 v32, s2, 0, v32, s2
	s_delay_alu instid0(VALU_DEP_2) | instskip(NEXT) | instid1(VALU_DEP_4)
	v_sub_f32_e32 v41, v44, v38
	v_mul_f32_e32 v42, v40, v38
	s_delay_alu instid0(VALU_DEP_3) | instskip(SKIP_1) | instid1(VALU_DEP_4)
	v_cvt_f32_i32_e32 v32, v32
	v_sub_f32_e32 v44, v40, v45
	v_add_f32_e32 v33, v33, v41
	s_delay_alu instid0(VALU_DEP_4) | instskip(NEXT) | instid1(VALU_DEP_3)
	v_fma_f32 v41, v40, v38, -v42
	v_sub_f32_e32 v43, v43, v44
	s_delay_alu instid0(VALU_DEP_2) | instskip(SKIP_1) | instid1(VALU_DEP_2)
	v_fmac_f32_e32 v41, v40, v33
	v_ldexp_f32 v33, v37, 1
	v_fmac_f32_e32 v41, v43, v38
	s_delay_alu instid0(VALU_DEP_1) | instskip(NEXT) | instid1(VALU_DEP_1)
	v_add_f32_e32 v37, v42, v41
	v_add_f32_e32 v38, v33, v37
	s_delay_alu instid0(VALU_DEP_1) | instskip(NEXT) | instid1(VALU_DEP_1)
	v_dual_sub_f32 v33, v38, v33 :: v_dual_sub_f32 v40, v37, v42
	v_dual_mul_f32 v42, 0x3f317218, v32 :: v_dual_sub_f32 v33, v37, v33
	s_delay_alu instid0(VALU_DEP_2) | instskip(NEXT) | instid1(VALU_DEP_2)
	v_sub_f32_e32 v40, v41, v40
	v_fma_f32 v41, 0x3f317218, v32, -v42
	s_delay_alu instid0(VALU_DEP_2) | instskip(NEXT) | instid1(VALU_DEP_1)
	v_add_f32_e32 v37, v39, v40
	v_dual_fmac_f32 v41, 0xb102e308, v32 :: v_dual_add_f32 v32, v37, v33
	s_delay_alu instid0(VALU_DEP_1) | instskip(NEXT) | instid1(VALU_DEP_2)
	v_add_f32_e32 v33, v42, v41
	v_add_f32_e32 v37, v38, v32
	s_delay_alu instid0(VALU_DEP_1) | instskip(SKIP_1) | instid1(VALU_DEP_1)
	v_add_f32_e32 v39, v33, v37
	v_sub_f32_e32 v42, v33, v42
	v_dual_sub_f32 v40, v39, v33 :: v_dual_sub_f32 v41, v41, v42
	s_delay_alu instid0(VALU_DEP_1) | instskip(NEXT) | instid1(VALU_DEP_1)
	v_dual_sub_f32 v43, v39, v40 :: v_dual_sub_f32 v38, v37, v38
	v_dual_sub_f32 v37, v37, v40 :: v_dual_sub_f32 v32, v32, v38
	s_delay_alu instid0(VALU_DEP_2) | instskip(NEXT) | instid1(VALU_DEP_2)
	v_sub_f32_e32 v33, v33, v43
	v_add_f32_e32 v38, v41, v32
	s_delay_alu instid0(VALU_DEP_2) | instskip(NEXT) | instid1(VALU_DEP_2)
	v_add_f32_e32 v33, v37, v33
	v_sub_f32_e32 v37, v38, v41
	s_delay_alu instid0(VALU_DEP_2) | instskip(NEXT) | instid1(VALU_DEP_2)
	v_add_f32_e32 v33, v38, v33
	v_sub_f32_e32 v38, v38, v37
	s_delay_alu instid0(VALU_DEP_2) | instskip(NEXT) | instid1(VALU_DEP_2)
	v_add_f32_e32 v40, v39, v33
	v_dual_sub_f32 v32, v32, v37 :: v_dual_sub_f32 v37, v41, v38
	s_delay_alu instid0(VALU_DEP_2) | instskip(NEXT) | instid1(VALU_DEP_1)
	v_sub_f32_e32 v38, v40, v39
	v_dual_add_f32 v32, v32, v37 :: v_dual_sub_f32 v33, v33, v38
	s_delay_alu instid0(VALU_DEP_1) | instskip(NEXT) | instid1(VALU_DEP_1)
	v_add_f32_e32 v32, v32, v33
	v_add_f32_e32 v33, v40, v32
	s_delay_alu instid0(VALU_DEP_1) | instskip(NEXT) | instid1(VALU_DEP_1)
	v_dual_sub_f32 v37, v33, v40 :: v_dual_mul_f32 v38, v35, v33
	v_sub_f32_e32 v32, v32, v37
	s_delay_alu instid0(VALU_DEP_2) | instskip(SKIP_1) | instid1(VALU_DEP_2)
	v_fma_f32 v33, v35, v33, -v38
	v_cmp_class_f32_e64 s2, v38, 0x204
	v_fmac_f32_e32 v33, v35, v32
	s_delay_alu instid0(VALU_DEP_1) | instskip(NEXT) | instid1(VALU_DEP_1)
	v_add_f32_e32 v32, v38, v33
	v_cndmask_b32_e64 v37, v32, v38, s2
	s_delay_alu instid0(VALU_DEP_1) | instskip(NEXT) | instid1(VALU_DEP_1)
	v_cmp_eq_f32_e64 s2, 0x42b17218, v37
	v_cndmask_b32_e64 v39, 0, 0x37000000, s2
	v_cmp_neq_f32_e64 s2, 0x7f800000, |v37|
	s_delay_alu instid0(VALU_DEP_2) | instskip(SKIP_1) | instid1(VALU_DEP_2)
	v_sub_f32_e32 v40, v37, v39
	v_trunc_f32_e32 v37, v35
	v_mul_f32_e32 v41, 0x3fb8aa3b, v40
	s_delay_alu instid0(VALU_DEP_1) | instskip(SKIP_1) | instid1(VALU_DEP_1)
	v_fma_f32 v42, 0x3fb8aa3b, v40, -v41
	v_rndne_f32_e32 v43, v41
	v_dual_fmac_f32 v42, 0x32a5705f, v40 :: v_dual_sub_f32 v41, v41, v43
	v_sub_f32_e32 v32, v32, v38
	v_cvt_i32_f32_e32 v38, v43
	s_delay_alu instid0(VALU_DEP_3) | instskip(NEXT) | instid1(VALU_DEP_3)
	v_add_f32_e32 v41, v41, v42
	v_sub_f32_e32 v32, v33, v32
	v_cndmask_b32_e64 v33, |v34|, 1.0, s1
	s_delay_alu instid0(VALU_DEP_3) | instskip(NEXT) | instid1(VALU_DEP_2)
	v_exp_f32_e32 v41, v41
	v_cndmask_b32_e64 v32, 0, v32, s2
	v_cmp_ngt_f32_e64 s2, 0xc2ce8ed0, v40
	s_delay_alu instid0(VALU_DEP_2) | instskip(SKIP_3) | instid1(VALU_DEP_2)
	v_add_f32_e32 v32, v39, v32
	s_waitcnt_depctr 0xfff
	v_ldexp_f32 v34, v41, v38
	v_mul_f32_e32 v38, 0.5, v35
	v_cndmask_b32_e64 v34, 0, v34, s2
	v_cmp_nlt_f32_e64 s2, 0x42b17218, v40
	s_delay_alu instid0(VALU_DEP_3) | instskip(NEXT) | instid1(VALU_DEP_2)
	v_trunc_f32_e32 v41, v38
	v_cndmask_b32_e64 v34, 0x7f800000, v34, s2
	v_cmp_eq_f32_e64 s2, v37, v35
	s_delay_alu instid0(VALU_DEP_3)
	v_cmp_neq_f32_e64 s3, v41, v38
	v_cndmask_b32_e64 v37, v26, 1.0, vcc_lo
	v_cmp_neq_f32_e32 vcc_lo, v35, v33
	v_fma_f32 v32, v34, v32, v34
	v_cmp_class_f32_e64 s5, v34, 0x204
	s_and_b32 s3, s2, s3
	s_delay_alu instid0(SALU_CYCLE_1) | instskip(SKIP_1) | instid1(VALU_DEP_2)
	v_cndmask_b32_e64 v38, 1.0, v37, s3
	s_xor_b32 s4, vcc_lo, s4
	v_cndmask_b32_e64 v32, v32, v34, s5
	v_cmp_gt_f32_e64 s5, 0, v35
	v_cmp_eq_f32_e32 vcc_lo, 0, v37
	v_cndmask_b32_e64 v34, v33, 0, s4
	v_cmp_eq_f32_e64 s4, 1.0, v36
	v_bfi_b32 v32, 0x7fffffff, v32, v38
	v_cndmask_b32_e64 v39, 0, v37, s3
	v_cmp_eq_f32_e64 s3, 0x7f800000, v33
	s_delay_alu instid0(VALU_DEP_4) | instskip(NEXT) | instid1(VALU_DEP_4)
	v_cndmask_b32_e64 v34, v34, v36, s4
	v_cndmask_b32_e64 v35, 0x7fc00000, v32, s2
	s_xor_b32 s2, s5, vcc_lo
	s_delay_alu instid0(SALU_CYCLE_1) | instskip(SKIP_1) | instid1(VALU_DEP_1)
	v_cndmask_b32_e64 v38, 0x7f800000, 0, s2
	v_cmp_gt_f32_e64 s2, 0, v37
	v_cndmask_b32_e64 v32, v32, v35, s2
	v_cmp_eq_f32_e64 s2, 0x7f800000, v36
	s_delay_alu instid0(VALU_DEP_4) | instskip(NEXT) | instid1(VALU_DEP_3)
	v_bfi_b32 v35, 0x7fffffff, v38, v39
	v_cndmask_b32_e64 v32, v32, v34, s3
	s_delay_alu instid0(VALU_DEP_3) | instskip(NEXT) | instid1(VALU_DEP_1)
	s_or_b32 vcc_lo, s2, vcc_lo
	v_cndmask_b32_e32 v32, v32, v35, vcc_lo
	s_delay_alu instid0(VALU_DEP_1) | instskip(SKIP_1) | instid1(VALU_DEP_2)
	v_div_scale_f32 v33, null, v32, v32, 1.0
	v_div_scale_f32 v36, vcc_lo, 1.0, v32, 1.0
	v_rcp_f32_e32 v34, v33
	s_waitcnt_depctr 0xfff
	v_fma_f32 v35, -v33, v34, 1.0
	s_delay_alu instid0(VALU_DEP_1) | instskip(NEXT) | instid1(VALU_DEP_1)
	v_fmac_f32_e32 v34, v35, v34
	v_mul_f32_e32 v35, v36, v34
	s_delay_alu instid0(VALU_DEP_1) | instskip(NEXT) | instid1(VALU_DEP_1)
	v_fma_f32 v38, -v33, v35, v36
	v_fmac_f32_e32 v35, v38, v34
	s_delay_alu instid0(VALU_DEP_1) | instskip(NEXT) | instid1(VALU_DEP_1)
	v_fma_f32 v33, -v33, v35, v36
	v_div_fmas_f32 v33, v33, v34, v35
	v_cmp_o_f32_e32 vcc_lo, v37, v37
	v_mov_b32_e32 v34, v7
	s_delay_alu instid0(VALU_DEP_3) | instskip(NEXT) | instid1(VALU_DEP_1)
	v_div_fixup_f32 v32, v33, v32, 1.0
	v_dual_mov_b32 v33, v8 :: v_dual_cndmask_b32 v32, 0x7fc00000, v32
	s_delay_alu instid0(VALU_DEP_1) | instskip(NEXT) | instid1(VALU_DEP_1)
	v_mul_f32_e32 v29, v29, v32
	v_dual_mov_b32 v32, v9 :: v_dual_fmac_f32 v27, v31, v29
.LBB0_84:                               ;   in Loop: Header=BB0_85 Depth=2
	s_or_b32 exec_lo, exec_lo, s33
	v_add_nc_u32_e32 v30, -1, v30
	s_add_i32 s29, s29, 52
	s_delay_alu instid0(VALU_DEP_1) | instskip(SKIP_1) | instid1(SALU_CYCLE_1)
	v_cmp_eq_u32_e32 vcc_lo, 0, v30
	s_or_b32 s30, vcc_lo, s30
	s_and_not1_b32 exec_lo, exec_lo, s30
	s_cbranch_execz .LBB0_92
.LBB0_85:                               ;   Parent Loop BB0_63 Depth=1
                                        ; =>  This Inner Loop Header: Depth=2
	s_add_i32 s2, s29, 12
	s_mov_b32 s33, exec_lo
	scratch_load_b32 v7, off, s2
	s_waitcnt vmcnt(0)
	v_cmpx_ge_i32_e64 v7, v10
	s_cbranch_execz .LBB0_84
; %bb.86:                               ;   in Loop: Header=BB0_85 Depth=2
	s_add_i32 s2, s29, 48
	s_mov_b32 s3, exec_lo
	s_clause 0x1
	scratch_load_b32 v31, off, s2
	scratch_load_b96 v[7:9], off, s29
	s_waitcnt vmcnt(1)
	v_cmpx_eq_f32_e32 -1.0, v31
	s_cbranch_execz .LBB0_88
; %bb.87:                               ;   in Loop: Header=BB0_85 Depth=2
	s_add_i32 s2, s29, 32
	s_add_i32 s4, s29, 16
	s_clause 0x1
	scratch_load_b96 v[35:37], off, s2
	scratch_load_b96 v[38:40], off, s4
	s_waitcnt vmcnt(1)
	v_cmp_eq_u32_e32 vcc_lo, 31, v36
	s_waitcnt vmcnt(0)
	v_cmp_gt_i32_e64 s2, 30, v39
	v_not_b32_e32 v31, v38
	v_sub_nc_u32_e32 v38, 30, v39
	v_sub_nc_u32_e32 v37, v37, v40
	s_delay_alu instid0(VALU_DEP_4)
	s_and_b32 vcc_lo, vcc_lo, s2
	s_delay_alu instid0(VALU_DEP_3) | instid1(SALU_CYCLE_1)
	v_add_co_ci_u32_e64 v35, s2, v35, v31, vcc_lo
	s_delay_alu instid0(VALU_DEP_3) | instskip(SKIP_1) | instid1(VALU_DEP_3)
	v_max_i32_e32 v31, 0, v38
	v_min_i32_e32 v38, 30, v36
	v_mul_lo_u32 v39, v35, 30
	s_delay_alu instid0(VALU_DEP_3) | instskip(NEXT) | instid1(VALU_DEP_3)
	v_mad_u64_u32 v[35:36], null, 0x168, v37, v[31:32]
	v_cndmask_b32_e64 v31, v38, 1, vcc_lo
	s_delay_alu instid0(VALU_DEP_1) | instskip(NEXT) | instid1(VALU_DEP_1)
	v_add3_u32 v31, v35, v31, v39
	v_cvt_f32_i32_e32 v31, v31
	s_delay_alu instid0(VALU_DEP_1) | instskip(NEXT) | instid1(VALU_DEP_1)
	v_div_scale_f32 v35, null, 0x43b40000, 0x43b40000, v31
	v_rcp_f32_e32 v36, v35
	s_waitcnt_depctr 0xfff
	v_fma_f32 v37, -v35, v36, 1.0
	s_delay_alu instid0(VALU_DEP_1) | instskip(SKIP_1) | instid1(VALU_DEP_1)
	v_fmac_f32_e32 v36, v37, v36
	v_div_scale_f32 v37, vcc_lo, v31, 0x43b40000, v31
	v_mul_f32_e32 v38, v37, v36
	s_delay_alu instid0(VALU_DEP_1) | instskip(NEXT) | instid1(VALU_DEP_1)
	v_fma_f32 v39, -v35, v38, v37
	v_fmac_f32_e32 v38, v39, v36
	s_delay_alu instid0(VALU_DEP_1) | instskip(NEXT) | instid1(VALU_DEP_1)
	v_fma_f32 v35, -v35, v38, v37
	v_div_fmas_f32 v35, v35, v36, v38
	s_delay_alu instid0(VALU_DEP_1) | instskip(NEXT) | instid1(VALU_DEP_1)
	v_div_fixup_f32 v31, v35, 0x43b40000, v31
	v_fma_f32 v31, v160, v31, 1.0
	s_delay_alu instid0(VALU_DEP_1) | instskip(NEXT) | instid1(VALU_DEP_1)
	v_add_f32_e32 v31, -1.0, v31
	v_mul_f32_e32 v31, 0x42c80000, v31
.LBB0_88:                               ;   in Loop: Header=BB0_85 Depth=2
	s_or_b32 exec_lo, exec_lo, s3
	s_waitcnt vmcnt(0)
	v_cmp_eq_u32_e32 vcc_lo, 31, v8
	v_min_i32_e32 v35, 30, v8
	s_xor_b32 s2, s31, -1
                                        ; implicit-def: $vgpr36
	s_delay_alu instid0(SALU_CYCLE_1) | instskip(NEXT) | instid1(SALU_CYCLE_1)
	s_and_saveexec_b32 s3, s2
	s_xor_b32 s3, exec_lo, s3
	s_cbranch_execz .LBB0_90
; %bb.89:                               ;   in Loop: Header=BB0_85 Depth=2
	v_cmp_gt_i32_e64 s2, 30, v33
	v_not_b32_e32 v34, v34
	v_sub_nc_u32_e32 v33, 30, v33
	s_delay_alu instid0(VALU_DEP_3) | instskip(NEXT) | instid1(SALU_CYCLE_1)
	s_and_b32 s2, vcc_lo, s2
	v_cndmask_b32_e64 v36, 0, 1, s2
	s_delay_alu instid0(VALU_DEP_1) | instskip(SKIP_2) | instid1(VALU_DEP_3)
	v_add3_u32 v34, v7, v34, v36
	v_sub_nc_u32_e32 v36, v9, v32
	v_max_i32_e32 v32, 0, v33
	v_mul_lo_u32 v37, v34, 30
	s_delay_alu instid0(VALU_DEP_2) | instskip(SKIP_1) | instid1(VALU_DEP_1)
	v_mad_u64_u32 v[33:34], null, 0x168, v36, v[32:33]
	v_cndmask_b32_e64 v32, v35, 1, s2
                                        ; implicit-def: $vgpr35
	v_add3_u32 v36, v33, v32, v37
.LBB0_90:                               ;   in Loop: Header=BB0_85 Depth=2
	s_and_not1_saveexec_b32 s2, s3
	s_cbranch_execz .LBB0_83
; %bb.91:                               ;   in Loop: Header=BB0_85 Depth=2
	s_and_b32 s3, vcc_lo, s0
	v_sub_nc_u32_e32 v34, v9, v6
	v_cndmask_b32_e64 v32, 0, 1, s3
	s_delay_alu instid0(VALU_DEP_1) | instskip(NEXT) | instid1(VALU_DEP_1)
	v_add3_u32 v32, v7, v5, v32
	v_mul_lo_u32 v36, v32, 30
	s_delay_alu instid0(VALU_DEP_4) | instskip(SKIP_1) | instid1(VALU_DEP_1)
	v_mad_u64_u32 v[32:33], null, 0x168, v34, v[4:5]
	v_cndmask_b32_e64 v33, v35, 1, s3
	v_add3_u32 v36, v32, v33, v36
	s_branch .LBB0_83
.LBB0_92:                               ;   in Loop: Header=BB0_63 Depth=1
	s_or_b32 exec_lo, exec_lo, s30
	v_sub_f32_e32 v30, v17, v27
	v_add_nc_u32_e32 v8, 1, v18
	v_mov_b32_e32 v26, 1
.LBB0_93:                               ;   in Loop: Header=BB0_63 Depth=1
	s_or_b32 exec_lo, exec_lo, s28
	v_mov_b32_e32 v7, v24
	v_mov_b32_e32 v27, v22
.LBB0_94:                               ;   in Loop: Header=BB0_63 Depth=1
	s_or_b32 exec_lo, exec_lo, s27
.LBB0_95:                               ;   in Loop: Header=BB0_63 Depth=1
	s_and_not1_saveexec_b32 s26, s26
	s_cbranch_execz .LBB0_107
; %bb.96:                               ;   in Loop: Header=BB0_63 Depth=1
	v_dual_sub_f32 v7, v22, v21 :: v_dual_mov_b32 v30, 1.0
	v_readfirstlane_b32 s2, v25
	v_mov_b32_e32 v29, 0
	v_mov_b32_e32 v31, v20
	s_delay_alu instid0(VALU_DEP_4) | instskip(SKIP_3) | instid1(VALU_DEP_1)
	v_fmamk_f32 v27, v7, 0x3fcccccd, v22
	s_mov_b32 s29, -1
	s_mov_b32 s27, s2
	s_mov_b32 s28, 0
                                        ; implicit-def: $vgpr33
                                        ; implicit-def: $vgpr34
                                        ; implicit-def: $vgpr35
	v_fma_f32 v28, v27, 0.5, 1.0
	s_delay_alu instid0(VALU_DEP_1)
	v_cmp_eq_f32_e64 s1, 1.0, v28
	s_branch .LBB0_99
.LBB0_97:                               ;   in Loop: Header=BB0_99 Depth=2
	s_or_b32 exec_lo, exec_lo, s2
	s_delay_alu instid0(VALU_DEP_1) | instskip(SKIP_1) | instid1(VALU_DEP_1)
	v_cvt_f32_i32_e32 v33, v37
	s_and_not1_b32 s29, s29, exec_lo
	v_div_scale_f32 v34, null, 0x43b40000, 0x43b40000, v33
	v_div_scale_f32 v37, vcc_lo, v33, 0x43b40000, v33
	s_delay_alu instid0(VALU_DEP_2) | instskip(SKIP_2) | instid1(VALU_DEP_1)
	v_rcp_f32_e32 v35, v34
	s_waitcnt_depctr 0xfff
	v_fma_f32 v36, -v34, v35, 1.0
	v_fmac_f32_e32 v35, v36, v35
	s_delay_alu instid0(VALU_DEP_1) | instskip(NEXT) | instid1(VALU_DEP_1)
	v_mul_f32_e32 v36, v37, v35
	v_fma_f32 v38, -v34, v36, v37
	s_delay_alu instid0(VALU_DEP_1) | instskip(NEXT) | instid1(VALU_DEP_1)
	v_fmac_f32_e32 v36, v38, v35
	v_fma_f32 v34, -v34, v36, v37
	s_delay_alu instid0(VALU_DEP_1) | instskip(NEXT) | instid1(VALU_DEP_1)
	v_div_fmas_f32 v34, v34, v35, v36
	v_div_fixup_f32 v33, v34, 0x43b40000, v33
	s_delay_alu instid0(VALU_DEP_1) | instskip(NEXT) | instid1(VALU_DEP_1)
	v_add_f32_e32 v35, v33, v33
	v_cndmask_b32_e64 v36, v35, 1.0, s1
	s_delay_alu instid0(VALU_DEP_1) | instskip(SKIP_1) | instid1(VALU_DEP_1)
	v_cmp_eq_f32_e32 vcc_lo, 0, v36
	v_cndmask_b32_e64 v37, |v28|, 1.0, vcc_lo
	v_frexp_mant_f32_e32 v33, v37
	v_cmp_gt_f32_e64 s4, 1.0, v37
	s_delay_alu instid0(VALU_DEP_2) | instskip(NEXT) | instid1(VALU_DEP_1)
	v_cmp_gt_f32_e64 s2, 0x3f2aaaab, v33
	v_cndmask_b32_e64 v34, 1.0, 2.0, s2
	s_delay_alu instid0(VALU_DEP_1) | instskip(NEXT) | instid1(VALU_DEP_1)
	v_mul_f32_e32 v33, v33, v34
	v_add_f32_e32 v34, 1.0, v33
	v_add_f32_e32 v39, -1.0, v33
	s_delay_alu instid0(VALU_DEP_2) | instskip(SKIP_3) | instid1(VALU_DEP_1)
	v_rcp_f32_e32 v38, v34
	v_add_f32_e32 v41, -1.0, v34
	s_waitcnt_depctr 0xfff
	v_mul_f32_e32 v40, v39, v38
	v_dual_mul_f32 v42, v34, v40 :: v_dual_sub_f32 v33, v33, v41
	s_delay_alu instid0(VALU_DEP_1) | instskip(NEXT) | instid1(VALU_DEP_1)
	v_fma_f32 v34, v40, v34, -v42
	v_fmac_f32_e32 v34, v40, v33
	s_delay_alu instid0(VALU_DEP_1) | instskip(NEXT) | instid1(VALU_DEP_1)
	v_add_f32_e32 v33, v42, v34
	v_dual_sub_f32 v41, v39, v33 :: v_dual_sub_f32 v42, v33, v42
	s_delay_alu instid0(VALU_DEP_1) | instskip(NEXT) | instid1(VALU_DEP_1)
	v_dual_sub_f32 v39, v39, v41 :: v_dual_sub_f32 v34, v42, v34
	v_sub_f32_e32 v33, v39, v33
	s_delay_alu instid0(VALU_DEP_1) | instskip(NEXT) | instid1(VALU_DEP_1)
	v_add_f32_e32 v33, v34, v33
	v_add_f32_e32 v33, v41, v33
	s_delay_alu instid0(VALU_DEP_1) | instskip(NEXT) | instid1(VALU_DEP_1)
	v_mul_f32_e32 v33, v38, v33
	v_add_f32_e32 v38, v40, v33
	s_delay_alu instid0(VALU_DEP_1) | instskip(SKIP_1) | instid1(VALU_DEP_1)
	v_sub_f32_e32 v34, v38, v40
	v_mul_f32_e32 v39, v38, v38
	v_fma_f32 v41, v38, v38, -v39
	s_delay_alu instid0(VALU_DEP_3) | instskip(NEXT) | instid1(VALU_DEP_1)
	v_sub_f32_e32 v40, v33, v34
	v_add_f32_e32 v33, v40, v40
	s_delay_alu instid0(VALU_DEP_1) | instskip(SKIP_1) | instid1(VALU_DEP_2)
	v_fmac_f32_e32 v41, v38, v33
	v_cvt_f64_f32_e32 v[33:34], v37
	v_add_f32_e32 v42, v39, v41
	s_delay_alu instid0(VALU_DEP_1) | instskip(SKIP_2) | instid1(VALU_DEP_1)
	v_fmaak_f32 v43, s9, v42, 0x3e91f4c4
	v_mul_f32_e32 v46, v38, v42
	v_sub_f32_e32 v39, v42, v39
	v_sub_f32_e32 v39, v41, v39
	s_delay_alu instid0(VALU_DEP_4) | instskip(NEXT) | instid1(VALU_DEP_1)
	v_fmaak_f32 v43, v42, v43, 0x3ecccdef
	v_mul_f32_e32 v44, v42, v43
	s_delay_alu instid0(VALU_DEP_1) | instskip(NEXT) | instid1(VALU_DEP_1)
	v_fma_f32 v41, v42, v43, -v44
	v_fmac_f32_e32 v41, v39, v43
	s_delay_alu instid0(VALU_DEP_1) | instskip(SKIP_1) | instid1(VALU_DEP_2)
	v_add_f32_e32 v43, v44, v41
	v_frexp_exp_i32_f64_e32 v33, v[33:34]
	v_sub_f32_e32 v44, v43, v44
	s_delay_alu instid0(VALU_DEP_1) | instskip(SKIP_1) | instid1(VALU_DEP_2)
	v_sub_f32_e32 v34, v41, v44
	v_fma_f32 v44, v42, v38, -v46
	v_add_f32_e32 v34, 0x31739010, v34
	s_delay_alu instid0(VALU_DEP_2) | instskip(SKIP_1) | instid1(VALU_DEP_2)
	v_dual_add_f32 v45, 0x3f2aaaaa, v43 :: v_dual_fmac_f32 v44, v42, v40
	v_ldexp_f32 v40, v40, 1
	v_dual_add_f32 v41, 0xbf2aaaaa, v45 :: v_dual_fmac_f32 v44, v39, v38
	s_delay_alu instid0(VALU_DEP_1) | instskip(NEXT) | instid1(VALU_DEP_1)
	v_sub_f32_e32 v41, v43, v41
	v_add_f32_e32 v34, v34, v41
	s_delay_alu instid0(VALU_DEP_3) | instskip(NEXT) | instid1(VALU_DEP_2)
	v_add_f32_e32 v41, v46, v44
	v_add_f32_e32 v39, v45, v34
	v_subrev_co_ci_u32_e64 v33, s2, 0, v33, s2
	s_delay_alu instid0(VALU_DEP_2) | instskip(NEXT) | instid1(VALU_DEP_4)
	v_sub_f32_e32 v42, v45, v39
	v_mul_f32_e32 v43, v41, v39
	s_delay_alu instid0(VALU_DEP_3) | instskip(SKIP_1) | instid1(VALU_DEP_4)
	v_cvt_f32_i32_e32 v33, v33
	v_sub_f32_e32 v45, v41, v46
	v_add_f32_e32 v34, v34, v42
	s_delay_alu instid0(VALU_DEP_4) | instskip(NEXT) | instid1(VALU_DEP_3)
	v_fma_f32 v42, v41, v39, -v43
	v_sub_f32_e32 v44, v44, v45
	s_delay_alu instid0(VALU_DEP_2) | instskip(SKIP_1) | instid1(VALU_DEP_2)
	v_fmac_f32_e32 v42, v41, v34
	v_ldexp_f32 v34, v38, 1
	v_fmac_f32_e32 v42, v44, v39
	s_delay_alu instid0(VALU_DEP_1) | instskip(NEXT) | instid1(VALU_DEP_1)
	v_add_f32_e32 v38, v43, v42
	v_add_f32_e32 v39, v34, v38
	s_delay_alu instid0(VALU_DEP_1) | instskip(NEXT) | instid1(VALU_DEP_1)
	v_dual_sub_f32 v34, v39, v34 :: v_dual_sub_f32 v41, v38, v43
	v_dual_mul_f32 v43, 0x3f317218, v33 :: v_dual_sub_f32 v34, v38, v34
	s_delay_alu instid0(VALU_DEP_2) | instskip(NEXT) | instid1(VALU_DEP_2)
	v_sub_f32_e32 v41, v42, v41
	v_fma_f32 v42, 0x3f317218, v33, -v43
	s_delay_alu instid0(VALU_DEP_2) | instskip(NEXT) | instid1(VALU_DEP_1)
	v_add_f32_e32 v38, v40, v41
	v_dual_fmac_f32 v42, 0xb102e308, v33 :: v_dual_add_f32 v33, v38, v34
	s_delay_alu instid0(VALU_DEP_1) | instskip(NEXT) | instid1(VALU_DEP_2)
	v_add_f32_e32 v34, v43, v42
	v_add_f32_e32 v38, v39, v33
	s_delay_alu instid0(VALU_DEP_1) | instskip(SKIP_1) | instid1(VALU_DEP_1)
	v_add_f32_e32 v40, v34, v38
	v_sub_f32_e32 v43, v34, v43
	v_dual_sub_f32 v41, v40, v34 :: v_dual_sub_f32 v42, v42, v43
	s_delay_alu instid0(VALU_DEP_1) | instskip(NEXT) | instid1(VALU_DEP_1)
	v_dual_sub_f32 v44, v40, v41 :: v_dual_sub_f32 v39, v38, v39
	v_dual_sub_f32 v38, v38, v41 :: v_dual_sub_f32 v33, v33, v39
	s_delay_alu instid0(VALU_DEP_2) | instskip(NEXT) | instid1(VALU_DEP_2)
	v_sub_f32_e32 v34, v34, v44
	v_add_f32_e32 v39, v42, v33
	s_delay_alu instid0(VALU_DEP_2) | instskip(NEXT) | instid1(VALU_DEP_2)
	v_add_f32_e32 v34, v38, v34
	v_sub_f32_e32 v38, v39, v42
	s_delay_alu instid0(VALU_DEP_2) | instskip(NEXT) | instid1(VALU_DEP_2)
	v_add_f32_e32 v34, v39, v34
	v_sub_f32_e32 v39, v39, v38
	s_delay_alu instid0(VALU_DEP_2) | instskip(NEXT) | instid1(VALU_DEP_2)
	v_add_f32_e32 v41, v40, v34
	v_dual_sub_f32 v33, v33, v38 :: v_dual_sub_f32 v38, v42, v39
	s_delay_alu instid0(VALU_DEP_2) | instskip(NEXT) | instid1(VALU_DEP_1)
	v_sub_f32_e32 v39, v41, v40
	v_dual_add_f32 v33, v33, v38 :: v_dual_sub_f32 v34, v34, v39
	s_delay_alu instid0(VALU_DEP_1) | instskip(NEXT) | instid1(VALU_DEP_1)
	v_add_f32_e32 v33, v33, v34
	v_add_f32_e32 v34, v41, v33
	s_delay_alu instid0(VALU_DEP_1) | instskip(NEXT) | instid1(VALU_DEP_1)
	v_dual_sub_f32 v38, v34, v41 :: v_dual_mul_f32 v39, v36, v34
	v_sub_f32_e32 v33, v33, v38
	s_delay_alu instid0(VALU_DEP_2) | instskip(SKIP_1) | instid1(VALU_DEP_2)
	v_fma_f32 v34, v36, v34, -v39
	v_cmp_class_f32_e64 s2, v39, 0x204
	v_fmac_f32_e32 v34, v36, v33
	s_delay_alu instid0(VALU_DEP_1) | instskip(NEXT) | instid1(VALU_DEP_1)
	v_add_f32_e32 v33, v39, v34
	v_cndmask_b32_e64 v38, v33, v39, s2
	s_delay_alu instid0(VALU_DEP_1) | instskip(NEXT) | instid1(VALU_DEP_1)
	v_cmp_eq_f32_e64 s2, 0x42b17218, v38
	v_cndmask_b32_e64 v40, 0, 0x37000000, s2
	v_cmp_neq_f32_e64 s2, 0x7f800000, |v38|
	s_delay_alu instid0(VALU_DEP_2) | instskip(SKIP_1) | instid1(VALU_DEP_2)
	v_sub_f32_e32 v41, v38, v40
	v_trunc_f32_e32 v38, v36
	v_mul_f32_e32 v42, 0x3fb8aa3b, v41
	s_delay_alu instid0(VALU_DEP_1) | instskip(SKIP_1) | instid1(VALU_DEP_1)
	v_fma_f32 v43, 0x3fb8aa3b, v41, -v42
	v_rndne_f32_e32 v44, v42
	v_dual_fmac_f32 v43, 0x32a5705f, v41 :: v_dual_sub_f32 v42, v42, v44
	v_sub_f32_e32 v33, v33, v39
	v_cvt_i32_f32_e32 v39, v44
	s_delay_alu instid0(VALU_DEP_3) | instskip(NEXT) | instid1(VALU_DEP_3)
	v_add_f32_e32 v42, v42, v43
	v_sub_f32_e32 v33, v34, v33
	v_cndmask_b32_e64 v34, |v35|, 1.0, s1
	s_delay_alu instid0(VALU_DEP_3) | instskip(NEXT) | instid1(VALU_DEP_2)
	v_exp_f32_e32 v42, v42
	v_cndmask_b32_e64 v33, 0, v33, s2
	v_cmp_ngt_f32_e64 s2, 0xc2ce8ed0, v41
	s_delay_alu instid0(VALU_DEP_2) | instskip(SKIP_3) | instid1(VALU_DEP_2)
	v_add_f32_e32 v33, v40, v33
	s_waitcnt_depctr 0xfff
	v_ldexp_f32 v35, v42, v39
	v_mul_f32_e32 v39, 0.5, v36
	v_cndmask_b32_e64 v35, 0, v35, s2
	v_cmp_nlt_f32_e64 s2, 0x42b17218, v41
	s_delay_alu instid0(VALU_DEP_3) | instskip(NEXT) | instid1(VALU_DEP_2)
	v_trunc_f32_e32 v42, v39
	v_cndmask_b32_e64 v35, 0x7f800000, v35, s2
	v_cmp_eq_f32_e64 s2, v38, v36
	s_delay_alu instid0(VALU_DEP_3)
	v_cmp_neq_f32_e64 s3, v42, v39
	v_cndmask_b32_e64 v38, v28, 1.0, vcc_lo
	v_cmp_neq_f32_e32 vcc_lo, v36, v34
	v_fma_f32 v33, v35, v33, v35
	v_cmp_class_f32_e64 s5, v35, 0x204
	s_and_b32 s3, s2, s3
	s_delay_alu instid0(SALU_CYCLE_1) | instskip(SKIP_1) | instid1(VALU_DEP_2)
	v_cndmask_b32_e64 v39, 1.0, v38, s3
	s_xor_b32 s4, vcc_lo, s4
	v_cndmask_b32_e64 v33, v33, v35, s5
	v_cmp_gt_f32_e64 s5, 0, v36
	v_cmp_eq_f32_e32 vcc_lo, 0, v38
	v_cndmask_b32_e64 v35, v34, 0, s4
	v_cmp_eq_f32_e64 s4, 1.0, v37
	v_bfi_b32 v33, 0x7fffffff, v33, v39
	v_cndmask_b32_e64 v40, 0, v38, s3
	v_cmp_eq_f32_e64 s3, 0x7f800000, v34
	s_delay_alu instid0(VALU_DEP_4) | instskip(NEXT) | instid1(VALU_DEP_4)
	v_cndmask_b32_e64 v35, v35, v37, s4
	v_cndmask_b32_e64 v36, 0x7fc00000, v33, s2
	s_xor_b32 s2, s5, vcc_lo
	s_delay_alu instid0(SALU_CYCLE_1) | instskip(SKIP_1) | instid1(VALU_DEP_1)
	v_cndmask_b32_e64 v39, 0x7f800000, 0, s2
	v_cmp_gt_f32_e64 s2, 0, v38
	v_cndmask_b32_e64 v33, v33, v36, s2
	v_cmp_eq_f32_e64 s2, 0x7f800000, v37
	s_delay_alu instid0(VALU_DEP_4) | instskip(NEXT) | instid1(VALU_DEP_3)
	v_bfi_b32 v36, 0x7fffffff, v39, v40
	v_cndmask_b32_e64 v33, v33, v35, s3
	s_delay_alu instid0(VALU_DEP_3) | instskip(NEXT) | instid1(VALU_DEP_1)
	s_or_b32 vcc_lo, s2, vcc_lo
	v_cndmask_b32_e32 v33, v33, v36, vcc_lo
	s_delay_alu instid0(VALU_DEP_1) | instskip(SKIP_1) | instid1(VALU_DEP_2)
	v_div_scale_f32 v34, null, v33, v33, 1.0
	v_div_scale_f32 v37, vcc_lo, 1.0, v33, 1.0
	v_rcp_f32_e32 v35, v34
	s_waitcnt_depctr 0xfff
	v_fma_f32 v36, -v34, v35, 1.0
	s_delay_alu instid0(VALU_DEP_1) | instskip(NEXT) | instid1(VALU_DEP_1)
	v_fmac_f32_e32 v35, v36, v35
	v_mul_f32_e32 v36, v37, v35
	s_delay_alu instid0(VALU_DEP_1) | instskip(NEXT) | instid1(VALU_DEP_1)
	v_fma_f32 v39, -v34, v36, v37
	v_fmac_f32_e32 v36, v39, v35
	s_delay_alu instid0(VALU_DEP_1) | instskip(NEXT) | instid1(VALU_DEP_1)
	v_fma_f32 v34, -v34, v36, v37
	v_div_fmas_f32 v34, v34, v35, v36
	v_cmp_o_f32_e32 vcc_lo, v38, v38
	v_mov_b32_e32 v35, v7
	s_delay_alu instid0(VALU_DEP_3) | instskip(NEXT) | instid1(VALU_DEP_1)
	v_div_fixup_f32 v33, v34, v33, 1.0
	v_dual_mov_b32 v34, v8 :: v_dual_cndmask_b32 v33, 0x7fc00000, v33
	s_delay_alu instid0(VALU_DEP_1) | instskip(NEXT) | instid1(VALU_DEP_1)
	v_dual_mul_f32 v30, v30, v33 :: v_dual_mov_b32 v33, v9
	v_fmac_f32_e32 v29, v32, v30
.LBB0_98:                               ;   in Loop: Header=BB0_99 Depth=2
	s_or_b32 exec_lo, exec_lo, s30
	v_add_nc_u32_e32 v31, -1, v31
	s_add_i32 s27, s27, 52
	s_delay_alu instid0(VALU_DEP_1) | instskip(SKIP_1) | instid1(SALU_CYCLE_1)
	v_cmp_eq_u32_e32 vcc_lo, 0, v31
	s_or_b32 s28, vcc_lo, s28
	s_and_not1_b32 exec_lo, exec_lo, s28
	s_cbranch_execz .LBB0_106
.LBB0_99:                               ;   Parent Loop BB0_63 Depth=1
                                        ; =>  This Inner Loop Header: Depth=2
	s_add_i32 s2, s27, 12
	s_mov_b32 s30, exec_lo
	scratch_load_b32 v7, off, s2
	s_waitcnt vmcnt(0)
	v_cmpx_ge_i32_e64 v7, v10
	s_cbranch_execz .LBB0_98
; %bb.100:                              ;   in Loop: Header=BB0_99 Depth=2
	s_add_i32 s2, s27, 48
	s_mov_b32 s3, exec_lo
	s_clause 0x1
	scratch_load_b32 v32, off, s2
	scratch_load_b96 v[7:9], off, s27
	s_waitcnt vmcnt(1)
	v_cmpx_eq_f32_e32 -1.0, v32
	s_cbranch_execz .LBB0_102
; %bb.101:                              ;   in Loop: Header=BB0_99 Depth=2
	s_add_i32 s2, s27, 32
	s_add_i32 s4, s27, 16
	s_clause 0x1
	scratch_load_b96 v[36:38], off, s2
	scratch_load_b96 v[39:41], off, s4
	s_waitcnt vmcnt(1)
	v_cmp_eq_u32_e32 vcc_lo, 31, v37
	s_waitcnt vmcnt(0)
	v_cmp_gt_i32_e64 s2, 30, v40
	v_not_b32_e32 v32, v39
	v_sub_nc_u32_e32 v39, 30, v40
	v_sub_nc_u32_e32 v38, v38, v41
	s_delay_alu instid0(VALU_DEP_4)
	s_and_b32 vcc_lo, vcc_lo, s2
	s_delay_alu instid0(VALU_DEP_3) | instid1(SALU_CYCLE_1)
	v_add_co_ci_u32_e64 v36, s2, v36, v32, vcc_lo
	s_delay_alu instid0(VALU_DEP_3) | instskip(SKIP_1) | instid1(VALU_DEP_3)
	v_max_i32_e32 v32, 0, v39
	v_min_i32_e32 v39, 30, v37
	v_mul_lo_u32 v40, v36, 30
	s_delay_alu instid0(VALU_DEP_3) | instskip(NEXT) | instid1(VALU_DEP_3)
	v_mad_u64_u32 v[36:37], null, 0x168, v38, v[32:33]
	v_cndmask_b32_e64 v32, v39, 1, vcc_lo
	s_delay_alu instid0(VALU_DEP_1) | instskip(NEXT) | instid1(VALU_DEP_1)
	v_add3_u32 v32, v36, v32, v40
	v_cvt_f32_i32_e32 v32, v32
	s_delay_alu instid0(VALU_DEP_1) | instskip(NEXT) | instid1(VALU_DEP_1)
	v_div_scale_f32 v36, null, 0x43b40000, 0x43b40000, v32
	v_rcp_f32_e32 v37, v36
	s_waitcnt_depctr 0xfff
	v_fma_f32 v38, -v36, v37, 1.0
	s_delay_alu instid0(VALU_DEP_1) | instskip(SKIP_1) | instid1(VALU_DEP_1)
	v_fmac_f32_e32 v37, v38, v37
	v_div_scale_f32 v38, vcc_lo, v32, 0x43b40000, v32
	v_mul_f32_e32 v39, v38, v37
	s_delay_alu instid0(VALU_DEP_1) | instskip(NEXT) | instid1(VALU_DEP_1)
	v_fma_f32 v40, -v36, v39, v38
	v_fmac_f32_e32 v39, v40, v37
	s_delay_alu instid0(VALU_DEP_1) | instskip(NEXT) | instid1(VALU_DEP_1)
	v_fma_f32 v36, -v36, v39, v38
	v_div_fmas_f32 v36, v36, v37, v39
	s_delay_alu instid0(VALU_DEP_1) | instskip(NEXT) | instid1(VALU_DEP_1)
	v_div_fixup_f32 v32, v36, 0x43b40000, v32
	v_fma_f32 v32, v160, v32, 1.0
	s_delay_alu instid0(VALU_DEP_1) | instskip(NEXT) | instid1(VALU_DEP_1)
	v_add_f32_e32 v32, -1.0, v32
	v_mul_f32_e32 v32, 0x42c80000, v32
.LBB0_102:                              ;   in Loop: Header=BB0_99 Depth=2
	s_or_b32 exec_lo, exec_lo, s3
	s_waitcnt vmcnt(0)
	v_cmp_eq_u32_e32 vcc_lo, 31, v8
	v_min_i32_e32 v36, 30, v8
	s_xor_b32 s2, s29, -1
                                        ; implicit-def: $vgpr37
	s_delay_alu instid0(SALU_CYCLE_1) | instskip(NEXT) | instid1(SALU_CYCLE_1)
	s_and_saveexec_b32 s3, s2
	s_xor_b32 s3, exec_lo, s3
	s_cbranch_execz .LBB0_104
; %bb.103:                              ;   in Loop: Header=BB0_99 Depth=2
	v_cmp_gt_i32_e64 s2, 30, v34
	v_not_b32_e32 v35, v35
	v_sub_nc_u32_e32 v34, 30, v34
	s_delay_alu instid0(VALU_DEP_3) | instskip(NEXT) | instid1(SALU_CYCLE_1)
	s_and_b32 s2, vcc_lo, s2
	v_cndmask_b32_e64 v37, 0, 1, s2
	s_delay_alu instid0(VALU_DEP_1) | instskip(SKIP_2) | instid1(VALU_DEP_3)
	v_add3_u32 v35, v7, v35, v37
	v_sub_nc_u32_e32 v37, v9, v33
	v_max_i32_e32 v33, 0, v34
	v_mul_lo_u32 v38, v35, 30
	s_delay_alu instid0(VALU_DEP_2) | instskip(SKIP_1) | instid1(VALU_DEP_1)
	v_mad_u64_u32 v[34:35], null, 0x168, v37, v[33:34]
	v_cndmask_b32_e64 v33, v36, 1, s2
                                        ; implicit-def: $vgpr36
	v_add3_u32 v37, v34, v33, v38
.LBB0_104:                              ;   in Loop: Header=BB0_99 Depth=2
	s_and_not1_saveexec_b32 s2, s3
	s_cbranch_execz .LBB0_97
; %bb.105:                              ;   in Loop: Header=BB0_99 Depth=2
	s_and_b32 s3, vcc_lo, s0
	v_sub_nc_u32_e32 v35, v9, v6
	v_cndmask_b32_e64 v33, 0, 1, s3
	s_delay_alu instid0(VALU_DEP_1) | instskip(NEXT) | instid1(VALU_DEP_1)
	v_add3_u32 v33, v7, v5, v33
	v_mul_lo_u32 v37, v33, 30
	s_delay_alu instid0(VALU_DEP_4) | instskip(SKIP_1) | instid1(VALU_DEP_1)
	v_mad_u64_u32 v[33:34], null, 0x168, v35, v[4:5]
	v_cndmask_b32_e64 v34, v36, 1, s3
	v_add3_u32 v37, v33, v34, v37
	s_branch .LBB0_97
.LBB0_106:                              ;   in Loop: Header=BB0_63 Depth=1
	s_or_b32 exec_lo, exec_lo, s28
	v_dual_sub_f32 v7, v17, v29 :: v_dual_mov_b32 v8, v18
	v_mov_b32_e32 v30, v23
	v_mov_b32_e32 v28, v21
.LBB0_107:                              ;   in Loop: Header=BB0_63 Depth=1
	s_or_b32 exec_lo, exec_lo, s26
.LBB0_108:                              ;   in Loop: Header=BB0_63 Depth=1
	s_and_not1_saveexec_b32 s25, s25
	s_cbranch_execz .LBB0_61
; %bb.109:                              ;   in Loop: Header=BB0_63 Depth=1
	v_dual_sub_f32 v7, v21, v22 :: v_dual_mov_b32 v30, 1.0
	v_readfirstlane_b32 s2, v25
	v_mov_b32_e32 v31, v20
	s_mov_b32 s28, -1
	s_delay_alu instid0(VALU_DEP_3) | instskip(NEXT) | instid1(VALU_DEP_3)
	v_dual_fmamk_f32 v28, v7, 0x3fcccccd, v21 :: v_dual_mov_b32 v29, 0
	s_mov_b32 s26, s2
	s_mov_b32 s27, 0
                                        ; implicit-def: $vgpr33
                                        ; implicit-def: $vgpr34
                                        ; implicit-def: $vgpr35
	s_delay_alu instid0(VALU_DEP_1) | instskip(NEXT) | instid1(VALU_DEP_1)
	v_fma_f32 v27, v28, 0.5, 1.0
	v_cmp_eq_f32_e64 s1, 1.0, v27
	s_branch .LBB0_112
.LBB0_110:                              ;   in Loop: Header=BB0_112 Depth=2
	s_or_b32 exec_lo, exec_lo, s2
	s_delay_alu instid0(VALU_DEP_1) | instskip(SKIP_1) | instid1(VALU_DEP_1)
	v_cvt_f32_i32_e32 v33, v37
	s_and_not1_b32 s28, s28, exec_lo
	v_div_scale_f32 v34, null, 0x43b40000, 0x43b40000, v33
	v_div_scale_f32 v37, vcc_lo, v33, 0x43b40000, v33
	s_delay_alu instid0(VALU_DEP_2) | instskip(SKIP_2) | instid1(VALU_DEP_1)
	v_rcp_f32_e32 v35, v34
	s_waitcnt_depctr 0xfff
	v_fma_f32 v36, -v34, v35, 1.0
	v_fmac_f32_e32 v35, v36, v35
	s_delay_alu instid0(VALU_DEP_1) | instskip(NEXT) | instid1(VALU_DEP_1)
	v_mul_f32_e32 v36, v37, v35
	v_fma_f32 v38, -v34, v36, v37
	s_delay_alu instid0(VALU_DEP_1) | instskip(NEXT) | instid1(VALU_DEP_1)
	v_fmac_f32_e32 v36, v38, v35
	v_fma_f32 v34, -v34, v36, v37
	s_delay_alu instid0(VALU_DEP_1) | instskip(NEXT) | instid1(VALU_DEP_1)
	v_div_fmas_f32 v34, v34, v35, v36
	v_div_fixup_f32 v33, v34, 0x43b40000, v33
	s_delay_alu instid0(VALU_DEP_1) | instskip(NEXT) | instid1(VALU_DEP_1)
	v_add_f32_e32 v35, v33, v33
	v_cndmask_b32_e64 v36, v35, 1.0, s1
	s_delay_alu instid0(VALU_DEP_1) | instskip(SKIP_1) | instid1(VALU_DEP_1)
	v_cmp_eq_f32_e32 vcc_lo, 0, v36
	v_cndmask_b32_e64 v37, |v27|, 1.0, vcc_lo
	v_frexp_mant_f32_e32 v33, v37
	v_cmp_gt_f32_e64 s4, 1.0, v37
	s_delay_alu instid0(VALU_DEP_2) | instskip(NEXT) | instid1(VALU_DEP_1)
	v_cmp_gt_f32_e64 s2, 0x3f2aaaab, v33
	v_cndmask_b32_e64 v34, 1.0, 2.0, s2
	s_delay_alu instid0(VALU_DEP_1) | instskip(NEXT) | instid1(VALU_DEP_1)
	v_mul_f32_e32 v33, v33, v34
	v_add_f32_e32 v34, 1.0, v33
	v_add_f32_e32 v39, -1.0, v33
	s_delay_alu instid0(VALU_DEP_2) | instskip(SKIP_3) | instid1(VALU_DEP_1)
	v_rcp_f32_e32 v38, v34
	v_add_f32_e32 v41, -1.0, v34
	s_waitcnt_depctr 0xfff
	v_mul_f32_e32 v40, v39, v38
	v_dual_mul_f32 v42, v34, v40 :: v_dual_sub_f32 v33, v33, v41
	s_delay_alu instid0(VALU_DEP_1) | instskip(NEXT) | instid1(VALU_DEP_1)
	v_fma_f32 v34, v40, v34, -v42
	v_fmac_f32_e32 v34, v40, v33
	s_delay_alu instid0(VALU_DEP_1) | instskip(NEXT) | instid1(VALU_DEP_1)
	v_add_f32_e32 v33, v42, v34
	v_dual_sub_f32 v41, v39, v33 :: v_dual_sub_f32 v42, v33, v42
	s_delay_alu instid0(VALU_DEP_1) | instskip(NEXT) | instid1(VALU_DEP_1)
	v_dual_sub_f32 v39, v39, v41 :: v_dual_sub_f32 v34, v42, v34
	v_sub_f32_e32 v33, v39, v33
	s_delay_alu instid0(VALU_DEP_1) | instskip(NEXT) | instid1(VALU_DEP_1)
	v_add_f32_e32 v33, v34, v33
	v_add_f32_e32 v33, v41, v33
	s_delay_alu instid0(VALU_DEP_1) | instskip(NEXT) | instid1(VALU_DEP_1)
	v_mul_f32_e32 v33, v38, v33
	v_add_f32_e32 v38, v40, v33
	s_delay_alu instid0(VALU_DEP_1) | instskip(SKIP_1) | instid1(VALU_DEP_1)
	v_sub_f32_e32 v34, v38, v40
	v_mul_f32_e32 v39, v38, v38
	v_fma_f32 v41, v38, v38, -v39
	s_delay_alu instid0(VALU_DEP_3) | instskip(NEXT) | instid1(VALU_DEP_1)
	v_sub_f32_e32 v40, v33, v34
	v_add_f32_e32 v33, v40, v40
	s_delay_alu instid0(VALU_DEP_1) | instskip(SKIP_1) | instid1(VALU_DEP_2)
	v_fmac_f32_e32 v41, v38, v33
	v_cvt_f64_f32_e32 v[33:34], v37
	v_add_f32_e32 v42, v39, v41
	s_delay_alu instid0(VALU_DEP_1) | instskip(SKIP_2) | instid1(VALU_DEP_1)
	v_fmaak_f32 v43, s9, v42, 0x3e91f4c4
	v_mul_f32_e32 v46, v38, v42
	v_sub_f32_e32 v39, v42, v39
	v_sub_f32_e32 v39, v41, v39
	s_delay_alu instid0(VALU_DEP_4) | instskip(NEXT) | instid1(VALU_DEP_1)
	v_fmaak_f32 v43, v42, v43, 0x3ecccdef
	v_mul_f32_e32 v44, v42, v43
	s_delay_alu instid0(VALU_DEP_1) | instskip(NEXT) | instid1(VALU_DEP_1)
	v_fma_f32 v41, v42, v43, -v44
	v_fmac_f32_e32 v41, v39, v43
	s_delay_alu instid0(VALU_DEP_1) | instskip(SKIP_1) | instid1(VALU_DEP_2)
	v_add_f32_e32 v43, v44, v41
	v_frexp_exp_i32_f64_e32 v33, v[33:34]
	v_sub_f32_e32 v44, v43, v44
	s_delay_alu instid0(VALU_DEP_1) | instskip(SKIP_1) | instid1(VALU_DEP_2)
	v_sub_f32_e32 v34, v41, v44
	v_fma_f32 v44, v42, v38, -v46
	v_add_f32_e32 v34, 0x31739010, v34
	s_delay_alu instid0(VALU_DEP_2) | instskip(SKIP_1) | instid1(VALU_DEP_2)
	v_dual_add_f32 v45, 0x3f2aaaaa, v43 :: v_dual_fmac_f32 v44, v42, v40
	v_ldexp_f32 v40, v40, 1
	v_dual_add_f32 v41, 0xbf2aaaaa, v45 :: v_dual_fmac_f32 v44, v39, v38
	s_delay_alu instid0(VALU_DEP_1) | instskip(NEXT) | instid1(VALU_DEP_1)
	v_sub_f32_e32 v41, v43, v41
	v_add_f32_e32 v34, v34, v41
	s_delay_alu instid0(VALU_DEP_3) | instskip(NEXT) | instid1(VALU_DEP_2)
	v_add_f32_e32 v41, v46, v44
	v_add_f32_e32 v39, v45, v34
	v_subrev_co_ci_u32_e64 v33, s2, 0, v33, s2
	s_delay_alu instid0(VALU_DEP_2) | instskip(NEXT) | instid1(VALU_DEP_4)
	v_sub_f32_e32 v42, v45, v39
	v_mul_f32_e32 v43, v41, v39
	s_delay_alu instid0(VALU_DEP_3) | instskip(SKIP_1) | instid1(VALU_DEP_4)
	v_cvt_f32_i32_e32 v33, v33
	v_sub_f32_e32 v45, v41, v46
	v_add_f32_e32 v34, v34, v42
	s_delay_alu instid0(VALU_DEP_4) | instskip(NEXT) | instid1(VALU_DEP_3)
	v_fma_f32 v42, v41, v39, -v43
	v_sub_f32_e32 v44, v44, v45
	s_delay_alu instid0(VALU_DEP_2) | instskip(SKIP_1) | instid1(VALU_DEP_2)
	v_fmac_f32_e32 v42, v41, v34
	v_ldexp_f32 v34, v38, 1
	v_fmac_f32_e32 v42, v44, v39
	s_delay_alu instid0(VALU_DEP_1) | instskip(NEXT) | instid1(VALU_DEP_1)
	v_add_f32_e32 v38, v43, v42
	v_add_f32_e32 v39, v34, v38
	s_delay_alu instid0(VALU_DEP_1) | instskip(NEXT) | instid1(VALU_DEP_1)
	v_dual_sub_f32 v34, v39, v34 :: v_dual_sub_f32 v41, v38, v43
	v_dual_mul_f32 v43, 0x3f317218, v33 :: v_dual_sub_f32 v34, v38, v34
	s_delay_alu instid0(VALU_DEP_2) | instskip(NEXT) | instid1(VALU_DEP_2)
	v_sub_f32_e32 v41, v42, v41
	v_fma_f32 v42, 0x3f317218, v33, -v43
	s_delay_alu instid0(VALU_DEP_2) | instskip(NEXT) | instid1(VALU_DEP_1)
	v_add_f32_e32 v38, v40, v41
	v_dual_fmac_f32 v42, 0xb102e308, v33 :: v_dual_add_f32 v33, v38, v34
	s_delay_alu instid0(VALU_DEP_1) | instskip(NEXT) | instid1(VALU_DEP_2)
	v_add_f32_e32 v34, v43, v42
	v_add_f32_e32 v38, v39, v33
	s_delay_alu instid0(VALU_DEP_1) | instskip(SKIP_1) | instid1(VALU_DEP_1)
	v_add_f32_e32 v40, v34, v38
	v_sub_f32_e32 v43, v34, v43
	v_dual_sub_f32 v41, v40, v34 :: v_dual_sub_f32 v42, v42, v43
	s_delay_alu instid0(VALU_DEP_1) | instskip(NEXT) | instid1(VALU_DEP_1)
	v_dual_sub_f32 v44, v40, v41 :: v_dual_sub_f32 v39, v38, v39
	v_dual_sub_f32 v38, v38, v41 :: v_dual_sub_f32 v33, v33, v39
	s_delay_alu instid0(VALU_DEP_2) | instskip(NEXT) | instid1(VALU_DEP_2)
	v_sub_f32_e32 v34, v34, v44
	v_add_f32_e32 v39, v42, v33
	s_delay_alu instid0(VALU_DEP_2) | instskip(NEXT) | instid1(VALU_DEP_2)
	v_add_f32_e32 v34, v38, v34
	v_sub_f32_e32 v38, v39, v42
	s_delay_alu instid0(VALU_DEP_2) | instskip(NEXT) | instid1(VALU_DEP_2)
	v_add_f32_e32 v34, v39, v34
	v_sub_f32_e32 v39, v39, v38
	s_delay_alu instid0(VALU_DEP_2) | instskip(NEXT) | instid1(VALU_DEP_2)
	v_add_f32_e32 v41, v40, v34
	v_dual_sub_f32 v33, v33, v38 :: v_dual_sub_f32 v38, v42, v39
	s_delay_alu instid0(VALU_DEP_2) | instskip(NEXT) | instid1(VALU_DEP_1)
	v_sub_f32_e32 v39, v41, v40
	v_dual_add_f32 v33, v33, v38 :: v_dual_sub_f32 v34, v34, v39
	s_delay_alu instid0(VALU_DEP_1) | instskip(NEXT) | instid1(VALU_DEP_1)
	v_add_f32_e32 v33, v33, v34
	v_add_f32_e32 v34, v41, v33
	s_delay_alu instid0(VALU_DEP_1) | instskip(NEXT) | instid1(VALU_DEP_1)
	v_dual_sub_f32 v38, v34, v41 :: v_dual_mul_f32 v39, v36, v34
	v_sub_f32_e32 v33, v33, v38
	s_delay_alu instid0(VALU_DEP_2) | instskip(SKIP_1) | instid1(VALU_DEP_2)
	v_fma_f32 v34, v36, v34, -v39
	v_cmp_class_f32_e64 s2, v39, 0x204
	v_fmac_f32_e32 v34, v36, v33
	s_delay_alu instid0(VALU_DEP_1) | instskip(NEXT) | instid1(VALU_DEP_1)
	v_add_f32_e32 v33, v39, v34
	v_cndmask_b32_e64 v38, v33, v39, s2
	s_delay_alu instid0(VALU_DEP_1) | instskip(NEXT) | instid1(VALU_DEP_1)
	v_cmp_eq_f32_e64 s2, 0x42b17218, v38
	v_cndmask_b32_e64 v40, 0, 0x37000000, s2
	v_cmp_neq_f32_e64 s2, 0x7f800000, |v38|
	s_delay_alu instid0(VALU_DEP_2) | instskip(SKIP_1) | instid1(VALU_DEP_2)
	v_sub_f32_e32 v41, v38, v40
	v_trunc_f32_e32 v38, v36
	v_mul_f32_e32 v42, 0x3fb8aa3b, v41
	s_delay_alu instid0(VALU_DEP_1) | instskip(SKIP_1) | instid1(VALU_DEP_1)
	v_fma_f32 v43, 0x3fb8aa3b, v41, -v42
	v_rndne_f32_e32 v44, v42
	v_dual_fmac_f32 v43, 0x32a5705f, v41 :: v_dual_sub_f32 v42, v42, v44
	v_sub_f32_e32 v33, v33, v39
	v_cvt_i32_f32_e32 v39, v44
	s_delay_alu instid0(VALU_DEP_3) | instskip(NEXT) | instid1(VALU_DEP_3)
	v_add_f32_e32 v42, v42, v43
	v_sub_f32_e32 v33, v34, v33
	v_cndmask_b32_e64 v34, |v35|, 1.0, s1
	s_delay_alu instid0(VALU_DEP_3) | instskip(NEXT) | instid1(VALU_DEP_2)
	v_exp_f32_e32 v42, v42
	v_cndmask_b32_e64 v33, 0, v33, s2
	v_cmp_ngt_f32_e64 s2, 0xc2ce8ed0, v41
	s_delay_alu instid0(VALU_DEP_2) | instskip(SKIP_3) | instid1(VALU_DEP_2)
	v_add_f32_e32 v33, v40, v33
	s_waitcnt_depctr 0xfff
	v_ldexp_f32 v35, v42, v39
	v_mul_f32_e32 v39, 0.5, v36
	v_cndmask_b32_e64 v35, 0, v35, s2
	v_cmp_nlt_f32_e64 s2, 0x42b17218, v41
	s_delay_alu instid0(VALU_DEP_3) | instskip(NEXT) | instid1(VALU_DEP_2)
	v_trunc_f32_e32 v42, v39
	v_cndmask_b32_e64 v35, 0x7f800000, v35, s2
	v_cmp_eq_f32_e64 s2, v38, v36
	s_delay_alu instid0(VALU_DEP_3)
	v_cmp_neq_f32_e64 s3, v42, v39
	v_cndmask_b32_e64 v38, v27, 1.0, vcc_lo
	v_cmp_neq_f32_e32 vcc_lo, v36, v34
	v_fma_f32 v33, v35, v33, v35
	v_cmp_class_f32_e64 s5, v35, 0x204
	s_and_b32 s3, s2, s3
	s_delay_alu instid0(SALU_CYCLE_1) | instskip(SKIP_1) | instid1(VALU_DEP_2)
	v_cndmask_b32_e64 v39, 1.0, v38, s3
	s_xor_b32 s4, vcc_lo, s4
	v_cndmask_b32_e64 v33, v33, v35, s5
	v_cmp_gt_f32_e64 s5, 0, v36
	v_cmp_eq_f32_e32 vcc_lo, 0, v38
	v_cndmask_b32_e64 v35, v34, 0, s4
	v_cmp_eq_f32_e64 s4, 1.0, v37
	v_bfi_b32 v33, 0x7fffffff, v33, v39
	v_cndmask_b32_e64 v40, 0, v38, s3
	v_cmp_eq_f32_e64 s3, 0x7f800000, v34
	s_delay_alu instid0(VALU_DEP_4) | instskip(NEXT) | instid1(VALU_DEP_4)
	v_cndmask_b32_e64 v35, v35, v37, s4
	v_cndmask_b32_e64 v36, 0x7fc00000, v33, s2
	s_xor_b32 s2, s5, vcc_lo
	s_delay_alu instid0(SALU_CYCLE_1) | instskip(SKIP_1) | instid1(VALU_DEP_1)
	v_cndmask_b32_e64 v39, 0x7f800000, 0, s2
	v_cmp_gt_f32_e64 s2, 0, v38
	v_cndmask_b32_e64 v33, v33, v36, s2
	v_cmp_eq_f32_e64 s2, 0x7f800000, v37
	s_delay_alu instid0(VALU_DEP_4) | instskip(NEXT) | instid1(VALU_DEP_3)
	v_bfi_b32 v36, 0x7fffffff, v39, v40
	v_cndmask_b32_e64 v33, v33, v35, s3
	s_delay_alu instid0(VALU_DEP_3) | instskip(NEXT) | instid1(VALU_DEP_1)
	s_or_b32 vcc_lo, s2, vcc_lo
	v_cndmask_b32_e32 v33, v33, v36, vcc_lo
	s_delay_alu instid0(VALU_DEP_1) | instskip(SKIP_1) | instid1(VALU_DEP_2)
	v_div_scale_f32 v34, null, v33, v33, 1.0
	v_div_scale_f32 v37, vcc_lo, 1.0, v33, 1.0
	v_rcp_f32_e32 v35, v34
	s_waitcnt_depctr 0xfff
	v_fma_f32 v36, -v34, v35, 1.0
	s_delay_alu instid0(VALU_DEP_1) | instskip(NEXT) | instid1(VALU_DEP_1)
	v_fmac_f32_e32 v35, v36, v35
	v_mul_f32_e32 v36, v37, v35
	s_delay_alu instid0(VALU_DEP_1) | instskip(NEXT) | instid1(VALU_DEP_1)
	v_fma_f32 v39, -v34, v36, v37
	v_fmac_f32_e32 v36, v39, v35
	s_delay_alu instid0(VALU_DEP_1) | instskip(NEXT) | instid1(VALU_DEP_1)
	v_fma_f32 v34, -v34, v36, v37
	v_div_fmas_f32 v34, v34, v35, v36
	v_cmp_o_f32_e32 vcc_lo, v38, v38
	v_mov_b32_e32 v35, v7
	s_delay_alu instid0(VALU_DEP_3) | instskip(NEXT) | instid1(VALU_DEP_1)
	v_div_fixup_f32 v33, v34, v33, 1.0
	v_dual_mov_b32 v34, v8 :: v_dual_cndmask_b32 v33, 0x7fc00000, v33
	s_delay_alu instid0(VALU_DEP_1) | instskip(NEXT) | instid1(VALU_DEP_1)
	v_dual_mul_f32 v30, v30, v33 :: v_dual_mov_b32 v33, v9
	v_fmac_f32_e32 v29, v32, v30
.LBB0_111:                              ;   in Loop: Header=BB0_112 Depth=2
	s_or_b32 exec_lo, exec_lo, s29
	v_add_nc_u32_e32 v31, -1, v31
	s_add_i32 s26, s26, 52
	s_delay_alu instid0(VALU_DEP_1) | instskip(SKIP_1) | instid1(SALU_CYCLE_1)
	v_cmp_eq_u32_e32 vcc_lo, 0, v31
	s_or_b32 s27, vcc_lo, s27
	s_and_not1_b32 exec_lo, exec_lo, s27
	s_cbranch_execz .LBB0_60
.LBB0_112:                              ;   Parent Loop BB0_63 Depth=1
                                        ; =>  This Inner Loop Header: Depth=2
	s_add_i32 s2, s26, 12
	s_mov_b32 s29, exec_lo
	scratch_load_b32 v7, off, s2
	s_waitcnt vmcnt(0)
	v_cmpx_ge_i32_e64 v7, v10
	s_cbranch_execz .LBB0_111
; %bb.113:                              ;   in Loop: Header=BB0_112 Depth=2
	s_add_i32 s2, s26, 48
	s_mov_b32 s3, exec_lo
	s_clause 0x1
	scratch_load_b32 v32, off, s2
	scratch_load_b96 v[7:9], off, s26
	s_waitcnt vmcnt(1)
	v_cmpx_eq_f32_e32 -1.0, v32
	s_cbranch_execz .LBB0_115
; %bb.114:                              ;   in Loop: Header=BB0_112 Depth=2
	s_add_i32 s2, s26, 32
	s_add_i32 s4, s26, 16
	s_clause 0x1
	scratch_load_b96 v[36:38], off, s2
	scratch_load_b96 v[39:41], off, s4
	s_waitcnt vmcnt(1)
	v_cmp_eq_u32_e32 vcc_lo, 31, v37
	s_waitcnt vmcnt(0)
	v_cmp_gt_i32_e64 s2, 30, v40
	v_not_b32_e32 v32, v39
	v_sub_nc_u32_e32 v39, 30, v40
	v_sub_nc_u32_e32 v38, v38, v41
	s_delay_alu instid0(VALU_DEP_4)
	s_and_b32 vcc_lo, vcc_lo, s2
	s_delay_alu instid0(VALU_DEP_3) | instid1(SALU_CYCLE_1)
	v_add_co_ci_u32_e64 v36, s2, v36, v32, vcc_lo
	s_delay_alu instid0(VALU_DEP_3) | instskip(SKIP_1) | instid1(VALU_DEP_3)
	v_max_i32_e32 v32, 0, v39
	v_min_i32_e32 v39, 30, v37
	v_mul_lo_u32 v40, v36, 30
	s_delay_alu instid0(VALU_DEP_3) | instskip(NEXT) | instid1(VALU_DEP_3)
	v_mad_u64_u32 v[36:37], null, 0x168, v38, v[32:33]
	v_cndmask_b32_e64 v32, v39, 1, vcc_lo
	s_delay_alu instid0(VALU_DEP_1) | instskip(NEXT) | instid1(VALU_DEP_1)
	v_add3_u32 v32, v36, v32, v40
	v_cvt_f32_i32_e32 v32, v32
	s_delay_alu instid0(VALU_DEP_1) | instskip(NEXT) | instid1(VALU_DEP_1)
	v_div_scale_f32 v36, null, 0x43b40000, 0x43b40000, v32
	v_rcp_f32_e32 v37, v36
	s_waitcnt_depctr 0xfff
	v_fma_f32 v38, -v36, v37, 1.0
	s_delay_alu instid0(VALU_DEP_1) | instskip(SKIP_1) | instid1(VALU_DEP_1)
	v_fmac_f32_e32 v37, v38, v37
	v_div_scale_f32 v38, vcc_lo, v32, 0x43b40000, v32
	v_mul_f32_e32 v39, v38, v37
	s_delay_alu instid0(VALU_DEP_1) | instskip(NEXT) | instid1(VALU_DEP_1)
	v_fma_f32 v40, -v36, v39, v38
	v_fmac_f32_e32 v39, v40, v37
	s_delay_alu instid0(VALU_DEP_1) | instskip(NEXT) | instid1(VALU_DEP_1)
	v_fma_f32 v36, -v36, v39, v38
	v_div_fmas_f32 v36, v36, v37, v39
	s_delay_alu instid0(VALU_DEP_1) | instskip(NEXT) | instid1(VALU_DEP_1)
	v_div_fixup_f32 v32, v36, 0x43b40000, v32
	v_fma_f32 v32, v160, v32, 1.0
	s_delay_alu instid0(VALU_DEP_1) | instskip(NEXT) | instid1(VALU_DEP_1)
	v_add_f32_e32 v32, -1.0, v32
	v_mul_f32_e32 v32, 0x42c80000, v32
.LBB0_115:                              ;   in Loop: Header=BB0_112 Depth=2
	s_or_b32 exec_lo, exec_lo, s3
	s_waitcnt vmcnt(0)
	v_cmp_eq_u32_e32 vcc_lo, 31, v8
	v_min_i32_e32 v36, 30, v8
	s_xor_b32 s2, s28, -1
                                        ; implicit-def: $vgpr37
	s_delay_alu instid0(SALU_CYCLE_1) | instskip(NEXT) | instid1(SALU_CYCLE_1)
	s_and_saveexec_b32 s3, s2
	s_xor_b32 s3, exec_lo, s3
	s_cbranch_execz .LBB0_117
; %bb.116:                              ;   in Loop: Header=BB0_112 Depth=2
	v_cmp_gt_i32_e64 s2, 30, v34
	v_not_b32_e32 v35, v35
	v_sub_nc_u32_e32 v34, 30, v34
	s_delay_alu instid0(VALU_DEP_3) | instskip(NEXT) | instid1(SALU_CYCLE_1)
	s_and_b32 s2, vcc_lo, s2
	v_cndmask_b32_e64 v37, 0, 1, s2
	s_delay_alu instid0(VALU_DEP_1) | instskip(SKIP_2) | instid1(VALU_DEP_3)
	v_add3_u32 v35, v7, v35, v37
	v_sub_nc_u32_e32 v37, v9, v33
	v_max_i32_e32 v33, 0, v34
	v_mul_lo_u32 v38, v35, 30
	s_delay_alu instid0(VALU_DEP_2) | instskip(SKIP_1) | instid1(VALU_DEP_1)
	v_mad_u64_u32 v[34:35], null, 0x168, v37, v[33:34]
	v_cndmask_b32_e64 v33, v36, 1, s2
                                        ; implicit-def: $vgpr36
	v_add3_u32 v37, v34, v33, v38
.LBB0_117:                              ;   in Loop: Header=BB0_112 Depth=2
	s_and_not1_saveexec_b32 s2, s3
	s_cbranch_execz .LBB0_110
; %bb.118:                              ;   in Loop: Header=BB0_112 Depth=2
	s_and_b32 s3, vcc_lo, s0
	v_sub_nc_u32_e32 v35, v9, v6
	v_cndmask_b32_e64 v33, 0, 1, s3
	s_delay_alu instid0(VALU_DEP_1) | instskip(NEXT) | instid1(VALU_DEP_1)
	v_add3_u32 v33, v7, v5, v33
	v_mul_lo_u32 v37, v33, 30
	s_delay_alu instid0(VALU_DEP_4) | instskip(SKIP_1) | instid1(VALU_DEP_1)
	v_mad_u64_u32 v[33:34], null, 0x168, v35, v[4:5]
	v_cndmask_b32_e64 v34, v36, 1, s3
	v_add3_u32 v37, v33, v34, v37
	s_branch .LBB0_110
.LBB0_119:
	s_or_b32 exec_lo, exec_lo, s7
	s_and_saveexec_b32 s1, s8
	s_delay_alu instid0(SALU_CYCLE_1)
	s_xor_b32 s7, exec_lo, s1
	s_cbranch_execz .LBB0_173
; %bb.120:
	v_mul_f32_e64 v7, 0x2441b0da, |v23|
	v_cmp_neq_f32_e32 vcc_lo, 0, v23
	s_delay_alu instid0(VALU_DEP_2) | instskip(NEXT) | instid1(VALU_DEP_1)
	v_cmp_nle_f32_e64 s1, |v23|, v7
	s_or_b32 s1, vcc_lo, s1
	s_delay_alu instid0(SALU_CYCLE_1)
	s_and_saveexec_b32 s8, s1
	s_cbranch_execz .LBB0_172
; %bb.121:
	v_mul_f32_e64 v7, 0x2441b0da, |v24|
	v_cmp_neq_f32_e32 vcc_lo, 0, v24
	s_delay_alu instid0(VALU_DEP_2) | instskip(NEXT) | instid1(VALU_DEP_1)
	v_cmp_nle_f32_e64 s1, |v24|, v7
	s_or_b32 s1, vcc_lo, s1
	s_delay_alu instid0(SALU_CYCLE_1)
	s_and_saveexec_b32 s9, s1
	s_cbranch_execz .LBB0_171
; %bb.122:
	v_add_f32_e32 v7, v22, v21
	v_mov_b32_e32 v25, 0
	s_movk_i32 s12, 0x230
	s_mov_b32 s13, -1
	s_mov_b32 s25, -1
	v_dual_mul_f32 v24, 0.5, v7 :: v_dual_mov_b32 v27, 1.0
	s_mov_b32 s24, 0
	s_mov_b32 s26, 0x3e76c4e1
                                        ; implicit-def: $vgpr29
                                        ; implicit-def: $vgpr30
                                        ; implicit-def: $vgpr31
	s_delay_alu instid0(VALU_DEP_1) | instskip(NEXT) | instid1(VALU_DEP_1)
	v_fma_f32 v26, v24, 0.5, 1.0
	v_cmp_eq_f32_e64 s1, 1.0, v26
	s_branch .LBB0_125
.LBB0_123:                              ;   in Loop: Header=BB0_125 Depth=1
	s_or_b32 exec_lo, exec_lo, s2
	s_delay_alu instid0(VALU_DEP_1) | instskip(SKIP_1) | instid1(VALU_DEP_1)
	v_cvt_f32_i32_e32 v29, v33
	s_and_not1_b32 s13, s13, exec_lo
	v_div_scale_f32 v30, null, 0x43b40000, 0x43b40000, v29
	v_div_scale_f32 v33, vcc_lo, v29, 0x43b40000, v29
	s_delay_alu instid0(VALU_DEP_2) | instskip(SKIP_2) | instid1(VALU_DEP_1)
	v_rcp_f32_e32 v31, v30
	s_waitcnt_depctr 0xfff
	v_fma_f32 v32, -v30, v31, 1.0
	v_fmac_f32_e32 v31, v32, v31
	s_delay_alu instid0(VALU_DEP_1) | instskip(NEXT) | instid1(VALU_DEP_1)
	v_mul_f32_e32 v32, v33, v31
	v_fma_f32 v34, -v30, v32, v33
	s_delay_alu instid0(VALU_DEP_1) | instskip(NEXT) | instid1(VALU_DEP_1)
	v_fmac_f32_e32 v32, v34, v31
	v_fma_f32 v30, -v30, v32, v33
	s_delay_alu instid0(VALU_DEP_1) | instskip(NEXT) | instid1(VALU_DEP_1)
	v_div_fmas_f32 v30, v30, v31, v32
	v_div_fixup_f32 v29, v30, 0x43b40000, v29
	s_delay_alu instid0(VALU_DEP_1) | instskip(NEXT) | instid1(VALU_DEP_1)
	v_add_f32_e32 v31, v29, v29
	v_cndmask_b32_e64 v32, v31, 1.0, s1
	s_delay_alu instid0(VALU_DEP_1) | instskip(SKIP_1) | instid1(VALU_DEP_1)
	v_cmp_eq_f32_e32 vcc_lo, 0, v32
	v_cndmask_b32_e64 v33, |v26|, 1.0, vcc_lo
	v_frexp_mant_f32_e32 v29, v33
	v_cmp_gt_f32_e64 s4, 1.0, v33
	s_delay_alu instid0(VALU_DEP_2) | instskip(NEXT) | instid1(VALU_DEP_1)
	v_cmp_gt_f32_e64 s2, 0x3f2aaaab, v29
	v_cndmask_b32_e64 v30, 1.0, 2.0, s2
	s_delay_alu instid0(VALU_DEP_1) | instskip(NEXT) | instid1(VALU_DEP_1)
	v_mul_f32_e32 v29, v29, v30
	v_add_f32_e32 v30, 1.0, v29
	v_add_f32_e32 v35, -1.0, v29
	s_delay_alu instid0(VALU_DEP_2) | instskip(SKIP_3) | instid1(VALU_DEP_1)
	v_rcp_f32_e32 v34, v30
	v_add_f32_e32 v37, -1.0, v30
	s_waitcnt_depctr 0xfff
	v_mul_f32_e32 v36, v35, v34
	v_dual_mul_f32 v38, v30, v36 :: v_dual_sub_f32 v29, v29, v37
	s_delay_alu instid0(VALU_DEP_1) | instskip(NEXT) | instid1(VALU_DEP_1)
	v_fma_f32 v30, v36, v30, -v38
	v_fmac_f32_e32 v30, v36, v29
	s_delay_alu instid0(VALU_DEP_1) | instskip(NEXT) | instid1(VALU_DEP_1)
	v_add_f32_e32 v29, v38, v30
	v_dual_sub_f32 v37, v35, v29 :: v_dual_sub_f32 v38, v29, v38
	s_delay_alu instid0(VALU_DEP_1) | instskip(NEXT) | instid1(VALU_DEP_1)
	v_dual_sub_f32 v35, v35, v37 :: v_dual_sub_f32 v30, v38, v30
	v_sub_f32_e32 v29, v35, v29
	s_delay_alu instid0(VALU_DEP_1) | instskip(NEXT) | instid1(VALU_DEP_1)
	v_add_f32_e32 v29, v30, v29
	v_add_f32_e32 v29, v37, v29
	s_delay_alu instid0(VALU_DEP_1) | instskip(NEXT) | instid1(VALU_DEP_1)
	v_mul_f32_e32 v29, v34, v29
	v_add_f32_e32 v34, v36, v29
	s_delay_alu instid0(VALU_DEP_1) | instskip(SKIP_1) | instid1(VALU_DEP_1)
	v_sub_f32_e32 v30, v34, v36
	v_mul_f32_e32 v35, v34, v34
	v_fma_f32 v37, v34, v34, -v35
	s_delay_alu instid0(VALU_DEP_3) | instskip(NEXT) | instid1(VALU_DEP_1)
	v_sub_f32_e32 v36, v29, v30
	v_add_f32_e32 v29, v36, v36
	s_delay_alu instid0(VALU_DEP_1) | instskip(SKIP_1) | instid1(VALU_DEP_2)
	v_fmac_f32_e32 v37, v34, v29
	v_cvt_f64_f32_e32 v[29:30], v33
	v_add_f32_e32 v38, v35, v37
	s_delay_alu instid0(VALU_DEP_1) | instskip(SKIP_2) | instid1(VALU_DEP_1)
	v_fmaak_f32 v39, s26, v38, 0x3e91f4c4
	v_mul_f32_e32 v42, v34, v38
	v_sub_f32_e32 v35, v38, v35
	v_sub_f32_e32 v35, v37, v35
	s_delay_alu instid0(VALU_DEP_4) | instskip(NEXT) | instid1(VALU_DEP_1)
	v_fmaak_f32 v39, v38, v39, 0x3ecccdef
	v_mul_f32_e32 v40, v38, v39
	s_delay_alu instid0(VALU_DEP_1) | instskip(NEXT) | instid1(VALU_DEP_1)
	v_fma_f32 v37, v38, v39, -v40
	v_fmac_f32_e32 v37, v35, v39
	s_delay_alu instid0(VALU_DEP_1) | instskip(SKIP_1) | instid1(VALU_DEP_2)
	v_add_f32_e32 v39, v40, v37
	v_frexp_exp_i32_f64_e32 v29, v[29:30]
	v_sub_f32_e32 v40, v39, v40
	s_delay_alu instid0(VALU_DEP_1) | instskip(SKIP_1) | instid1(VALU_DEP_2)
	v_sub_f32_e32 v30, v37, v40
	v_fma_f32 v40, v38, v34, -v42
	v_add_f32_e32 v30, 0x31739010, v30
	s_delay_alu instid0(VALU_DEP_2) | instskip(SKIP_1) | instid1(VALU_DEP_2)
	v_dual_add_f32 v41, 0x3f2aaaaa, v39 :: v_dual_fmac_f32 v40, v38, v36
	v_ldexp_f32 v36, v36, 1
	v_dual_add_f32 v37, 0xbf2aaaaa, v41 :: v_dual_fmac_f32 v40, v35, v34
	s_delay_alu instid0(VALU_DEP_1) | instskip(NEXT) | instid1(VALU_DEP_1)
	v_sub_f32_e32 v37, v39, v37
	v_add_f32_e32 v30, v30, v37
	s_delay_alu instid0(VALU_DEP_3) | instskip(NEXT) | instid1(VALU_DEP_2)
	v_add_f32_e32 v37, v42, v40
	v_add_f32_e32 v35, v41, v30
	v_subrev_co_ci_u32_e64 v29, s2, 0, v29, s2
	s_delay_alu instid0(VALU_DEP_2) | instskip(NEXT) | instid1(VALU_DEP_4)
	v_sub_f32_e32 v38, v41, v35
	v_mul_f32_e32 v39, v37, v35
	s_delay_alu instid0(VALU_DEP_3) | instskip(SKIP_1) | instid1(VALU_DEP_4)
	v_cvt_f32_i32_e32 v29, v29
	v_sub_f32_e32 v41, v37, v42
	v_add_f32_e32 v30, v30, v38
	s_delay_alu instid0(VALU_DEP_4) | instskip(NEXT) | instid1(VALU_DEP_3)
	v_fma_f32 v38, v37, v35, -v39
	v_sub_f32_e32 v40, v40, v41
	s_delay_alu instid0(VALU_DEP_2) | instskip(SKIP_1) | instid1(VALU_DEP_2)
	v_fmac_f32_e32 v38, v37, v30
	v_ldexp_f32 v30, v34, 1
	v_fmac_f32_e32 v38, v40, v35
	s_delay_alu instid0(VALU_DEP_1) | instskip(NEXT) | instid1(VALU_DEP_1)
	v_add_f32_e32 v34, v39, v38
	v_add_f32_e32 v35, v30, v34
	s_delay_alu instid0(VALU_DEP_1) | instskip(NEXT) | instid1(VALU_DEP_1)
	v_dual_sub_f32 v30, v35, v30 :: v_dual_sub_f32 v37, v34, v39
	v_dual_mul_f32 v39, 0x3f317218, v29 :: v_dual_sub_f32 v30, v34, v30
	s_delay_alu instid0(VALU_DEP_2) | instskip(NEXT) | instid1(VALU_DEP_2)
	v_sub_f32_e32 v37, v38, v37
	v_fma_f32 v38, 0x3f317218, v29, -v39
	s_delay_alu instid0(VALU_DEP_2) | instskip(NEXT) | instid1(VALU_DEP_1)
	v_add_f32_e32 v34, v36, v37
	v_dual_fmac_f32 v38, 0xb102e308, v29 :: v_dual_add_f32 v29, v34, v30
	s_delay_alu instid0(VALU_DEP_1) | instskip(NEXT) | instid1(VALU_DEP_2)
	v_add_f32_e32 v30, v39, v38
	v_add_f32_e32 v34, v35, v29
	s_delay_alu instid0(VALU_DEP_1) | instskip(SKIP_1) | instid1(VALU_DEP_1)
	v_add_f32_e32 v36, v30, v34
	v_sub_f32_e32 v39, v30, v39
	v_dual_sub_f32 v37, v36, v30 :: v_dual_sub_f32 v38, v38, v39
	s_delay_alu instid0(VALU_DEP_1) | instskip(NEXT) | instid1(VALU_DEP_1)
	v_dual_sub_f32 v40, v36, v37 :: v_dual_sub_f32 v35, v34, v35
	v_dual_sub_f32 v34, v34, v37 :: v_dual_sub_f32 v29, v29, v35
	s_delay_alu instid0(VALU_DEP_2) | instskip(NEXT) | instid1(VALU_DEP_2)
	v_sub_f32_e32 v30, v30, v40
	v_add_f32_e32 v35, v38, v29
	s_delay_alu instid0(VALU_DEP_2) | instskip(NEXT) | instid1(VALU_DEP_2)
	v_add_f32_e32 v30, v34, v30
	v_sub_f32_e32 v34, v35, v38
	s_delay_alu instid0(VALU_DEP_2) | instskip(NEXT) | instid1(VALU_DEP_2)
	v_add_f32_e32 v30, v35, v30
	v_sub_f32_e32 v35, v35, v34
	s_delay_alu instid0(VALU_DEP_2) | instskip(NEXT) | instid1(VALU_DEP_2)
	v_add_f32_e32 v37, v36, v30
	v_dual_sub_f32 v29, v29, v34 :: v_dual_sub_f32 v34, v38, v35
	s_delay_alu instid0(VALU_DEP_2) | instskip(NEXT) | instid1(VALU_DEP_1)
	v_sub_f32_e32 v35, v37, v36
	v_dual_add_f32 v29, v29, v34 :: v_dual_sub_f32 v30, v30, v35
	s_delay_alu instid0(VALU_DEP_1) | instskip(NEXT) | instid1(VALU_DEP_1)
	v_add_f32_e32 v29, v29, v30
	v_add_f32_e32 v30, v37, v29
	s_delay_alu instid0(VALU_DEP_1) | instskip(NEXT) | instid1(VALU_DEP_1)
	v_dual_sub_f32 v34, v30, v37 :: v_dual_mul_f32 v35, v32, v30
	v_sub_f32_e32 v29, v29, v34
	s_delay_alu instid0(VALU_DEP_2) | instskip(SKIP_1) | instid1(VALU_DEP_2)
	v_fma_f32 v30, v32, v30, -v35
	v_cmp_class_f32_e64 s2, v35, 0x204
	v_fmac_f32_e32 v30, v32, v29
	s_delay_alu instid0(VALU_DEP_1) | instskip(NEXT) | instid1(VALU_DEP_1)
	v_add_f32_e32 v29, v35, v30
	v_cndmask_b32_e64 v34, v29, v35, s2
	s_delay_alu instid0(VALU_DEP_1) | instskip(NEXT) | instid1(VALU_DEP_1)
	v_cmp_eq_f32_e64 s2, 0x42b17218, v34
	v_cndmask_b32_e64 v36, 0, 0x37000000, s2
	v_cmp_neq_f32_e64 s2, 0x7f800000, |v34|
	s_delay_alu instid0(VALU_DEP_2) | instskip(SKIP_1) | instid1(VALU_DEP_2)
	v_sub_f32_e32 v37, v34, v36
	v_trunc_f32_e32 v34, v32
	v_mul_f32_e32 v38, 0x3fb8aa3b, v37
	s_delay_alu instid0(VALU_DEP_1) | instskip(SKIP_1) | instid1(VALU_DEP_1)
	v_fma_f32 v39, 0x3fb8aa3b, v37, -v38
	v_rndne_f32_e32 v40, v38
	v_dual_fmac_f32 v39, 0x32a5705f, v37 :: v_dual_sub_f32 v38, v38, v40
	v_sub_f32_e32 v29, v29, v35
	v_cvt_i32_f32_e32 v35, v40
	s_delay_alu instid0(VALU_DEP_3) | instskip(NEXT) | instid1(VALU_DEP_3)
	v_add_f32_e32 v38, v38, v39
	v_sub_f32_e32 v29, v30, v29
	v_cndmask_b32_e64 v30, |v31|, 1.0, s1
	s_delay_alu instid0(VALU_DEP_3) | instskip(NEXT) | instid1(VALU_DEP_2)
	v_exp_f32_e32 v38, v38
	v_cndmask_b32_e64 v29, 0, v29, s2
	v_cmp_ngt_f32_e64 s2, 0xc2ce8ed0, v37
	s_delay_alu instid0(VALU_DEP_2) | instskip(SKIP_3) | instid1(VALU_DEP_2)
	v_add_f32_e32 v29, v36, v29
	s_waitcnt_depctr 0xfff
	v_ldexp_f32 v31, v38, v35
	v_mul_f32_e32 v35, 0.5, v32
	v_cndmask_b32_e64 v31, 0, v31, s2
	v_cmp_nlt_f32_e64 s2, 0x42b17218, v37
	s_delay_alu instid0(VALU_DEP_3) | instskip(NEXT) | instid1(VALU_DEP_2)
	v_trunc_f32_e32 v38, v35
	v_cndmask_b32_e64 v31, 0x7f800000, v31, s2
	v_cmp_eq_f32_e64 s2, v34, v32
	s_delay_alu instid0(VALU_DEP_3)
	v_cmp_neq_f32_e64 s3, v38, v35
	v_cndmask_b32_e64 v34, v26, 1.0, vcc_lo
	v_cmp_neq_f32_e32 vcc_lo, v32, v30
	v_fma_f32 v29, v31, v29, v31
	v_cmp_class_f32_e64 s5, v31, 0x204
	s_and_b32 s3, s2, s3
	s_delay_alu instid0(SALU_CYCLE_1) | instskip(SKIP_1) | instid1(VALU_DEP_2)
	v_cndmask_b32_e64 v35, 1.0, v34, s3
	s_xor_b32 s4, vcc_lo, s4
	v_cndmask_b32_e64 v29, v29, v31, s5
	v_cmp_gt_f32_e64 s5, 0, v32
	v_cmp_eq_f32_e32 vcc_lo, 0, v34
	v_cndmask_b32_e64 v31, v30, 0, s4
	v_cmp_eq_f32_e64 s4, 1.0, v33
	v_bfi_b32 v29, 0x7fffffff, v29, v35
	v_cndmask_b32_e64 v36, 0, v34, s3
	v_cmp_eq_f32_e64 s3, 0x7f800000, v30
	s_delay_alu instid0(VALU_DEP_4) | instskip(NEXT) | instid1(VALU_DEP_4)
	v_cndmask_b32_e64 v31, v31, v33, s4
	v_cndmask_b32_e64 v32, 0x7fc00000, v29, s2
	s_xor_b32 s2, s5, vcc_lo
	s_delay_alu instid0(SALU_CYCLE_1) | instskip(SKIP_1) | instid1(VALU_DEP_1)
	v_cndmask_b32_e64 v35, 0x7f800000, 0, s2
	v_cmp_gt_f32_e64 s2, 0, v34
	v_cndmask_b32_e64 v29, v29, v32, s2
	v_cmp_eq_f32_e64 s2, 0x7f800000, v33
	s_delay_alu instid0(VALU_DEP_4) | instskip(NEXT) | instid1(VALU_DEP_3)
	v_bfi_b32 v32, 0x7fffffff, v35, v36
	v_cndmask_b32_e64 v29, v29, v31, s3
	s_delay_alu instid0(VALU_DEP_3) | instskip(NEXT) | instid1(VALU_DEP_1)
	s_or_b32 vcc_lo, s2, vcc_lo
	v_cndmask_b32_e32 v29, v29, v32, vcc_lo
	s_delay_alu instid0(VALU_DEP_1) | instskip(SKIP_1) | instid1(VALU_DEP_2)
	v_div_scale_f32 v30, null, v29, v29, 1.0
	v_div_scale_f32 v33, vcc_lo, 1.0, v29, 1.0
	v_rcp_f32_e32 v31, v30
	s_waitcnt_depctr 0xfff
	v_fma_f32 v32, -v30, v31, 1.0
	s_delay_alu instid0(VALU_DEP_1) | instskip(NEXT) | instid1(VALU_DEP_1)
	v_fmac_f32_e32 v31, v32, v31
	v_mul_f32_e32 v32, v33, v31
	s_delay_alu instid0(VALU_DEP_1) | instskip(NEXT) | instid1(VALU_DEP_1)
	v_fma_f32 v35, -v30, v32, v33
	v_fmac_f32_e32 v32, v35, v31
	s_delay_alu instid0(VALU_DEP_1) | instskip(NEXT) | instid1(VALU_DEP_1)
	v_fma_f32 v30, -v30, v32, v33
	v_div_fmas_f32 v30, v30, v31, v32
	v_cmp_o_f32_e32 vcc_lo, v34, v34
	v_mov_b32_e32 v31, v7
	s_delay_alu instid0(VALU_DEP_3) | instskip(NEXT) | instid1(VALU_DEP_1)
	v_div_fixup_f32 v29, v30, v29, 1.0
	v_dual_mov_b32 v30, v8 :: v_dual_cndmask_b32 v29, 0x7fc00000, v29
	s_delay_alu instid0(VALU_DEP_1) | instskip(SKIP_1) | instid1(VALU_DEP_2)
	v_mul_f32_e32 v27, v27, v29
	v_mov_b32_e32 v29, v9
	v_fmac_f32_e32 v25, v28, v27
.LBB0_124:                              ;   in Loop: Header=BB0_125 Depth=1
	s_or_b32 exec_lo, exec_lo, s27
	s_add_i32 s25, s25, 1
	s_add_i32 s12, s12, 52
	v_cmp_eq_u32_e32 vcc_lo, s25, v173
	s_or_b32 s24, vcc_lo, s24
	s_delay_alu instid0(SALU_CYCLE_1)
	s_and_not1_b32 exec_lo, exec_lo, s24
	s_cbranch_execz .LBB0_132
.LBB0_125:                              ; =>This Inner Loop Header: Depth=1
	s_add_i32 s2, s12, 12
	s_mov_b32 s27, exec_lo
	scratch_load_b32 v7, off, s2
	s_waitcnt vmcnt(0)
	v_cmpx_ge_i32_e64 v7, v10
	s_cbranch_execz .LBB0_124
; %bb.126:                              ;   in Loop: Header=BB0_125 Depth=1
	s_add_i32 s2, s12, 48
	s_mov_b32 s3, exec_lo
	s_clause 0x1
	scratch_load_b32 v28, off, s2
	scratch_load_b96 v[7:9], off, s12
	s_waitcnt vmcnt(1)
	v_cmpx_eq_f32_e32 -1.0, v28
	s_cbranch_execz .LBB0_128
; %bb.127:                              ;   in Loop: Header=BB0_125 Depth=1
	s_add_i32 s2, s12, 32
	s_add_i32 s4, s12, 16
	s_clause 0x1
	scratch_load_b96 v[32:34], off, s2
	scratch_load_b96 v[35:37], off, s4
	s_waitcnt vmcnt(1)
	v_cmp_eq_u32_e32 vcc_lo, 31, v33
	s_waitcnt vmcnt(0)
	v_cmp_gt_i32_e64 s2, 30, v36
	v_not_b32_e32 v28, v35
	v_sub_nc_u32_e32 v35, 30, v36
	v_sub_nc_u32_e32 v34, v34, v37
	s_delay_alu instid0(VALU_DEP_4)
	s_and_b32 vcc_lo, vcc_lo, s2
	s_delay_alu instid0(VALU_DEP_3) | instid1(SALU_CYCLE_1)
	v_add_co_ci_u32_e64 v32, s2, v32, v28, vcc_lo
	s_delay_alu instid0(VALU_DEP_3) | instskip(SKIP_1) | instid1(VALU_DEP_3)
	v_max_i32_e32 v28, 0, v35
	v_min_i32_e32 v35, 30, v33
	v_mul_lo_u32 v36, v32, 30
	s_delay_alu instid0(VALU_DEP_3) | instskip(NEXT) | instid1(VALU_DEP_3)
	v_mad_u64_u32 v[32:33], null, 0x168, v34, v[28:29]
	v_cndmask_b32_e64 v28, v35, 1, vcc_lo
	s_delay_alu instid0(VALU_DEP_1) | instskip(NEXT) | instid1(VALU_DEP_1)
	v_add3_u32 v28, v32, v28, v36
	v_cvt_f32_i32_e32 v28, v28
	s_delay_alu instid0(VALU_DEP_1) | instskip(NEXT) | instid1(VALU_DEP_1)
	v_div_scale_f32 v32, null, 0x43b40000, 0x43b40000, v28
	v_rcp_f32_e32 v33, v32
	s_waitcnt_depctr 0xfff
	v_fma_f32 v34, -v32, v33, 1.0
	s_delay_alu instid0(VALU_DEP_1) | instskip(SKIP_1) | instid1(VALU_DEP_1)
	v_fmac_f32_e32 v33, v34, v33
	v_div_scale_f32 v34, vcc_lo, v28, 0x43b40000, v28
	v_mul_f32_e32 v35, v34, v33
	s_delay_alu instid0(VALU_DEP_1) | instskip(NEXT) | instid1(VALU_DEP_1)
	v_fma_f32 v36, -v32, v35, v34
	v_fmac_f32_e32 v35, v36, v33
	s_delay_alu instid0(VALU_DEP_1) | instskip(NEXT) | instid1(VALU_DEP_1)
	v_fma_f32 v32, -v32, v35, v34
	v_div_fmas_f32 v32, v32, v33, v35
	s_delay_alu instid0(VALU_DEP_1) | instskip(NEXT) | instid1(VALU_DEP_1)
	v_div_fixup_f32 v28, v32, 0x43b40000, v28
	v_fma_f32 v28, v160, v28, 1.0
	s_delay_alu instid0(VALU_DEP_1) | instskip(NEXT) | instid1(VALU_DEP_1)
	v_add_f32_e32 v28, -1.0, v28
	v_mul_f32_e32 v28, 0x42c80000, v28
.LBB0_128:                              ;   in Loop: Header=BB0_125 Depth=1
	s_or_b32 exec_lo, exec_lo, s3
	s_waitcnt vmcnt(0)
	v_cmp_eq_u32_e32 vcc_lo, 31, v8
	v_min_i32_e32 v32, 30, v8
	s_xor_b32 s2, s13, -1
                                        ; implicit-def: $vgpr33
	s_delay_alu instid0(SALU_CYCLE_1) | instskip(NEXT) | instid1(SALU_CYCLE_1)
	s_and_saveexec_b32 s3, s2
	s_xor_b32 s3, exec_lo, s3
	s_cbranch_execz .LBB0_130
; %bb.129:                              ;   in Loop: Header=BB0_125 Depth=1
	v_cmp_gt_i32_e64 s2, 30, v30
	v_not_b32_e32 v31, v31
	v_sub_nc_u32_e32 v30, 30, v30
	s_delay_alu instid0(VALU_DEP_3) | instskip(NEXT) | instid1(SALU_CYCLE_1)
	s_and_b32 s2, vcc_lo, s2
	v_cndmask_b32_e64 v33, 0, 1, s2
	s_delay_alu instid0(VALU_DEP_1) | instskip(SKIP_2) | instid1(VALU_DEP_3)
	v_add3_u32 v31, v7, v31, v33
	v_sub_nc_u32_e32 v33, v9, v29
	v_max_i32_e32 v29, 0, v30
	v_mul_lo_u32 v34, v31, 30
	s_delay_alu instid0(VALU_DEP_2) | instskip(SKIP_1) | instid1(VALU_DEP_1)
	v_mad_u64_u32 v[30:31], null, 0x168, v33, v[29:30]
	v_cndmask_b32_e64 v29, v32, 1, s2
                                        ; implicit-def: $vgpr32
	v_add3_u32 v33, v30, v29, v34
.LBB0_130:                              ;   in Loop: Header=BB0_125 Depth=1
	s_and_not1_saveexec_b32 s2, s3
	s_cbranch_execz .LBB0_123
; %bb.131:                              ;   in Loop: Header=BB0_125 Depth=1
	s_and_b32 s3, vcc_lo, s0
	v_sub_nc_u32_e32 v31, v9, v6
	v_cndmask_b32_e64 v29, 0, 1, s3
	s_delay_alu instid0(VALU_DEP_1) | instskip(NEXT) | instid1(VALU_DEP_1)
	v_add3_u32 v29, v7, v5, v29
	v_mul_lo_u32 v33, v29, 30
	s_delay_alu instid0(VALU_DEP_4) | instskip(SKIP_1) | instid1(VALU_DEP_1)
	v_mad_u64_u32 v[29:30], null, 0x168, v31, v[4:5]
	v_cndmask_b32_e64 v30, v32, 1, s3
	v_add3_u32 v33, v29, v30, v33
	s_branch .LBB0_123
.LBB0_132:
	s_or_b32 exec_lo, exec_lo, s24
	v_dual_mov_b32 v27, 0 :: v_dual_mov_b32 v28, 0
	s_movk_i32 s12, 0x230
	s_mov_b32 s13, 0
	s_mov_b32 s24, -1
	s_mov_b32 s25, 0x3e76c4e1
	s_branch .LBB0_135
.LBB0_133:                              ;   in Loop: Header=BB0_135 Depth=1
	s_or_b32 exec_lo, exec_lo, s3
	s_waitcnt vmcnt(0)
	v_cmp_eq_u32_e32 vcc_lo, 31, v8
	v_sub_nc_u32_e32 v9, v9, v6
	v_min_i32_e32 v31, 30, v8
	s_and_b32 s2, vcc_lo, s0
	s_delay_alu instid0(SALU_CYCLE_1) | instskip(NEXT) | instid1(VALU_DEP_1)
	v_cndmask_b32_e64 v30, 0, 1, s2
	v_add3_u32 v30, v7, v5, v30
	v_mad_u64_u32 v[7:8], null, 0x168, v9, v[4:5]
	v_cndmask_b32_e64 v9, v31, 1, s2
	s_delay_alu instid0(VALU_DEP_3) | instskip(NEXT) | instid1(VALU_DEP_1)
	v_mul_lo_u32 v8, v30, 30
	v_add3_u32 v7, v7, v9, v8
	s_delay_alu instid0(VALU_DEP_1) | instskip(NEXT) | instid1(VALU_DEP_1)
	v_cvt_f32_i32_e32 v7, v7
	v_div_scale_f32 v8, null, 0x43b40000, 0x43b40000, v7
	v_div_scale_f32 v31, vcc_lo, v7, 0x43b40000, v7
	s_delay_alu instid0(VALU_DEP_2) | instskip(SKIP_2) | instid1(VALU_DEP_1)
	v_rcp_f32_e32 v9, v8
	s_waitcnt_depctr 0xfff
	v_fma_f32 v30, -v8, v9, 1.0
	v_fmac_f32_e32 v9, v30, v9
	s_delay_alu instid0(VALU_DEP_1) | instskip(NEXT) | instid1(VALU_DEP_1)
	v_mul_f32_e32 v30, v31, v9
	v_fma_f32 v32, -v8, v30, v31
	s_delay_alu instid0(VALU_DEP_1) | instskip(NEXT) | instid1(VALU_DEP_1)
	v_fmac_f32_e32 v30, v32, v9
	v_fma_f32 v8, -v8, v30, v31
	s_delay_alu instid0(VALU_DEP_1) | instskip(NEXT) | instid1(VALU_DEP_1)
	v_div_fmas_f32 v8, v8, v9, v30
	v_div_fixup_f32 v9, v8, 0x43b40000, v7
	s_delay_alu instid0(VALU_DEP_1) | instskip(NEXT) | instid1(VALU_DEP_1)
	v_add_f32_e32 v30, v9, v9
	v_cndmask_b32_e64 v31, v30, 1.0, s1
	s_delay_alu instid0(VALU_DEP_1) | instskip(SKIP_1) | instid1(VALU_DEP_1)
	v_cmp_eq_f32_e32 vcc_lo, 0, v31
	v_cndmask_b32_e64 v32, |v26|, 1.0, vcc_lo
	v_frexp_mant_f32_e32 v7, v32
	v_cmp_gt_f32_e64 s4, 1.0, v32
	s_delay_alu instid0(VALU_DEP_2) | instskip(NEXT) | instid1(VALU_DEP_1)
	v_cmp_gt_f32_e64 s2, 0x3f2aaaab, v7
	v_cndmask_b32_e64 v8, 1.0, 2.0, s2
	s_delay_alu instid0(VALU_DEP_1) | instskip(NEXT) | instid1(VALU_DEP_1)
	v_mul_f32_e32 v7, v7, v8
	v_add_f32_e32 v8, 1.0, v7
	v_add_f32_e32 v34, -1.0, v7
	s_delay_alu instid0(VALU_DEP_2) | instskip(SKIP_1) | instid1(VALU_DEP_1)
	v_rcp_f32_e32 v33, v8
	v_add_f32_e32 v36, -1.0, v8
	v_sub_f32_e32 v7, v7, v36
	s_waitcnt_depctr 0xfff
	v_mul_f32_e32 v35, v34, v33
	s_delay_alu instid0(VALU_DEP_1) | instskip(NEXT) | instid1(VALU_DEP_1)
	v_mul_f32_e32 v37, v8, v35
	v_fma_f32 v8, v35, v8, -v37
	s_delay_alu instid0(VALU_DEP_1) | instskip(NEXT) | instid1(VALU_DEP_1)
	v_fmac_f32_e32 v8, v35, v7
	v_add_f32_e32 v7, v37, v8
	s_delay_alu instid0(VALU_DEP_1) | instskip(NEXT) | instid1(VALU_DEP_1)
	v_dual_sub_f32 v36, v34, v7 :: v_dual_sub_f32 v37, v7, v37
	v_sub_f32_e32 v8, v37, v8
	s_delay_alu instid0(VALU_DEP_2) | instskip(NEXT) | instid1(VALU_DEP_1)
	v_sub_f32_e32 v34, v34, v36
	v_sub_f32_e32 v7, v34, v7
	s_delay_alu instid0(VALU_DEP_1) | instskip(NEXT) | instid1(VALU_DEP_1)
	v_add_f32_e32 v7, v8, v7
	v_add_f32_e32 v7, v36, v7
	s_delay_alu instid0(VALU_DEP_1) | instskip(NEXT) | instid1(VALU_DEP_1)
	v_mul_f32_e32 v7, v33, v7
	v_add_f32_e32 v33, v35, v7
	s_delay_alu instid0(VALU_DEP_1) | instskip(SKIP_1) | instid1(VALU_DEP_1)
	v_sub_f32_e32 v8, v33, v35
	v_mul_f32_e32 v34, v33, v33
	v_fma_f32 v36, v33, v33, -v34
	s_delay_alu instid0(VALU_DEP_3) | instskip(NEXT) | instid1(VALU_DEP_1)
	v_sub_f32_e32 v35, v7, v8
	v_add_f32_e32 v7, v35, v35
	s_delay_alu instid0(VALU_DEP_1) | instskip(SKIP_1) | instid1(VALU_DEP_2)
	v_fmac_f32_e32 v36, v33, v7
	v_cvt_f64_f32_e32 v[7:8], v32
	v_add_f32_e32 v37, v34, v36
	s_delay_alu instid0(VALU_DEP_1) | instskip(SKIP_1) | instid1(VALU_DEP_1)
	v_sub_f32_e32 v34, v37, v34
	v_fmaak_f32 v38, s25, v37, 0x3e91f4c4
	v_fmaak_f32 v38, v37, v38, 0x3ecccdef
	v_mul_f32_e32 v41, v33, v37
	s_delay_alu instid0(VALU_DEP_2) | instskip(SKIP_1) | instid1(VALU_DEP_2)
	v_mul_f32_e32 v39, v37, v38
	v_sub_f32_e32 v34, v36, v34
	v_fma_f32 v36, v37, v38, -v39
	s_delay_alu instid0(VALU_DEP_1) | instskip(NEXT) | instid1(VALU_DEP_1)
	v_fmac_f32_e32 v36, v34, v38
	v_add_f32_e32 v38, v39, v36
	v_frexp_exp_i32_f64_e32 v7, v[7:8]
	s_delay_alu instid0(VALU_DEP_2) | instskip(NEXT) | instid1(VALU_DEP_1)
	v_sub_f32_e32 v39, v38, v39
	v_sub_f32_e32 v8, v36, v39
	v_fma_f32 v39, v37, v33, -v41
	s_delay_alu instid0(VALU_DEP_1) | instskip(NEXT) | instid1(VALU_DEP_3)
	v_dual_fmac_f32 v39, v37, v35 :: v_dual_add_f32 v40, 0x3f2aaaaa, v38
	v_add_f32_e32 v8, 0x31739010, v8
	v_ldexp_f32 v35, v35, 1
	s_delay_alu instid0(VALU_DEP_3) | instskip(NEXT) | instid1(VALU_DEP_1)
	v_dual_fmac_f32 v39, v34, v33 :: v_dual_add_f32 v36, 0xbf2aaaaa, v40
	v_sub_f32_e32 v36, v38, v36
	s_delay_alu instid0(VALU_DEP_1) | instskip(NEXT) | instid1(VALU_DEP_3)
	v_add_f32_e32 v8, v8, v36
	v_add_f32_e32 v36, v41, v39
	v_subrev_co_ci_u32_e64 v7, s2, 0, v7, s2
	s_delay_alu instid0(VALU_DEP_1) | instskip(NEXT) | instid1(VALU_DEP_4)
	v_cvt_f32_i32_e32 v7, v7
	v_add_f32_e32 v34, v40, v8
	s_delay_alu instid0(VALU_DEP_1) | instskip(SKIP_2) | instid1(VALU_DEP_3)
	v_sub_f32_e32 v37, v40, v34
	v_mul_f32_e32 v38, v36, v34
	v_sub_f32_e32 v40, v36, v41
	v_add_f32_e32 v8, v8, v37
	s_delay_alu instid0(VALU_DEP_3) | instskip(NEXT) | instid1(VALU_DEP_3)
	v_fma_f32 v37, v36, v34, -v38
	v_sub_f32_e32 v39, v39, v40
	s_delay_alu instid0(VALU_DEP_2) | instskip(SKIP_1) | instid1(VALU_DEP_2)
	v_fmac_f32_e32 v37, v36, v8
	v_ldexp_f32 v8, v33, 1
	v_fmac_f32_e32 v37, v39, v34
	s_delay_alu instid0(VALU_DEP_1) | instskip(NEXT) | instid1(VALU_DEP_1)
	v_add_f32_e32 v33, v38, v37
	v_sub_f32_e32 v36, v33, v38
	v_mul_f32_e32 v38, 0x3f317218, v7
	v_add_f32_e32 v34, v8, v33
	s_delay_alu instid0(VALU_DEP_3) | instskip(NEXT) | instid1(VALU_DEP_3)
	v_sub_f32_e32 v36, v37, v36
	v_fma_f32 v37, 0x3f317218, v7, -v38
	s_delay_alu instid0(VALU_DEP_1) | instskip(NEXT) | instid1(VALU_DEP_1)
	v_dual_fmac_f32 v37, 0xb102e308, v7 :: v_dual_sub_f32 v8, v34, v8
	v_sub_f32_e32 v8, v33, v8
	s_delay_alu instid0(VALU_DEP_4) | instskip(NEXT) | instid1(VALU_DEP_1)
	v_add_f32_e32 v33, v35, v36
	v_add_f32_e32 v7, v33, v8
	s_delay_alu instid0(VALU_DEP_1) | instskip(SKIP_1) | instid1(VALU_DEP_1)
	v_add_f32_e32 v33, v34, v7
	v_add_f32_e32 v8, v38, v37
	;; [unrolled: 1-line block ×3, first 2 shown]
	s_delay_alu instid0(VALU_DEP_1) | instskip(NEXT) | instid1(VALU_DEP_1)
	v_sub_f32_e32 v36, v35, v8
	v_dual_sub_f32 v39, v35, v36 :: v_dual_sub_f32 v34, v33, v34
	v_sub_f32_e32 v33, v33, v36
	s_delay_alu instid0(VALU_DEP_2) | instskip(SKIP_1) | instid1(VALU_DEP_1)
	v_sub_f32_e32 v7, v7, v34
	v_sub_f32_e32 v38, v8, v38
	v_dual_sub_f32 v8, v8, v39 :: v_dual_sub_f32 v37, v37, v38
	s_delay_alu instid0(VALU_DEP_1) | instskip(NEXT) | instid1(VALU_DEP_2)
	v_add_f32_e32 v8, v33, v8
	v_add_f32_e32 v34, v37, v7
	s_delay_alu instid0(VALU_DEP_1) | instskip(NEXT) | instid1(VALU_DEP_3)
	v_sub_f32_e32 v33, v34, v37
	v_add_f32_e32 v8, v34, v8
	s_delay_alu instid0(VALU_DEP_2) | instskip(NEXT) | instid1(VALU_DEP_2)
	v_sub_f32_e32 v34, v34, v33
	v_add_f32_e32 v36, v35, v8
	v_sub_f32_e32 v7, v7, v33
	s_delay_alu instid0(VALU_DEP_2) | instskip(NEXT) | instid1(VALU_DEP_1)
	v_dual_sub_f32 v33, v37, v34 :: v_dual_sub_f32 v34, v36, v35
	v_dual_add_f32 v7, v7, v33 :: v_dual_sub_f32 v8, v8, v34
	s_delay_alu instid0(VALU_DEP_1) | instskip(NEXT) | instid1(VALU_DEP_1)
	v_add_f32_e32 v7, v7, v8
	v_add_f32_e32 v8, v36, v7
	s_delay_alu instid0(VALU_DEP_1) | instskip(SKIP_1) | instid1(VALU_DEP_2)
	v_sub_f32_e32 v33, v8, v36
	v_mul_f32_e32 v34, v31, v8
	v_sub_f32_e32 v7, v7, v33
	s_delay_alu instid0(VALU_DEP_2) | instskip(SKIP_1) | instid1(VALU_DEP_2)
	v_fma_f32 v8, v31, v8, -v34
	v_cmp_class_f32_e64 s2, v34, 0x204
	v_fmac_f32_e32 v8, v31, v7
	s_delay_alu instid0(VALU_DEP_1) | instskip(NEXT) | instid1(VALU_DEP_1)
	v_add_f32_e32 v7, v34, v8
	v_cndmask_b32_e64 v33, v7, v34, s2
	s_delay_alu instid0(VALU_DEP_1) | instskip(NEXT) | instid1(VALU_DEP_1)
	v_cmp_eq_f32_e64 s2, 0x42b17218, v33
	v_cndmask_b32_e64 v35, 0, 0x37000000, s2
	v_cmp_neq_f32_e64 s2, 0x7f800000, |v33|
	s_delay_alu instid0(VALU_DEP_2) | instskip(SKIP_1) | instid1(VALU_DEP_2)
	v_dual_sub_f32 v36, v33, v35 :: v_dual_sub_f32 v7, v7, v34
	v_trunc_f32_e32 v33, v31
	v_mul_f32_e32 v37, 0x3fb8aa3b, v36
	s_delay_alu instid0(VALU_DEP_3) | instskip(SKIP_1) | instid1(VALU_DEP_3)
	v_sub_f32_e32 v7, v8, v7
	v_cndmask_b32_e64 v8, |v30|, 1.0, s1
	v_fma_f32 v38, 0x3fb8aa3b, v36, -v37
	v_rndne_f32_e32 v39, v37
	s_delay_alu instid0(VALU_DEP_4) | instskip(SKIP_1) | instid1(VALU_DEP_3)
	v_cndmask_b32_e64 v7, 0, v7, s2
	v_cmp_ngt_f32_e64 s2, 0xc2ce8ed0, v36
	v_dual_fmac_f32 v38, 0x32a5705f, v36 :: v_dual_sub_f32 v37, v37, v39
	v_cvt_i32_f32_e32 v34, v39
	s_delay_alu instid0(VALU_DEP_4) | instskip(NEXT) | instid1(VALU_DEP_3)
	v_add_f32_e32 v7, v35, v7
	v_add_f32_e32 v37, v37, v38
	s_delay_alu instid0(VALU_DEP_1) | instskip(SKIP_3) | instid1(VALU_DEP_2)
	v_exp_f32_e32 v37, v37
	s_waitcnt_depctr 0xfff
	v_ldexp_f32 v30, v37, v34
	v_mul_f32_e32 v34, 0.5, v31
	v_cndmask_b32_e64 v30, 0, v30, s2
	v_cmp_nlt_f32_e64 s2, 0x42b17218, v36
	s_delay_alu instid0(VALU_DEP_3) | instskip(NEXT) | instid1(VALU_DEP_2)
	v_trunc_f32_e32 v37, v34
	v_cndmask_b32_e64 v30, 0x7f800000, v30, s2
	v_cmp_eq_f32_e64 s2, v33, v31
	s_delay_alu instid0(VALU_DEP_3)
	v_cmp_neq_f32_e64 s3, v37, v34
	v_cndmask_b32_e64 v33, v26, 1.0, vcc_lo
	v_cmp_neq_f32_e32 vcc_lo, v31, v8
	v_fma_f32 v7, v30, v7, v30
	v_cmp_class_f32_e64 s5, v30, 0x204
	s_and_b32 s3, s2, s3
	s_delay_alu instid0(SALU_CYCLE_1) | instskip(SKIP_1) | instid1(VALU_DEP_2)
	v_cndmask_b32_e64 v34, 1.0, v33, s3
	s_xor_b32 s4, vcc_lo, s4
	v_cndmask_b32_e64 v7, v7, v30, s5
	v_cmp_gt_f32_e64 s5, 0, v31
	v_cmp_eq_f32_e32 vcc_lo, 0, v33
	v_cndmask_b32_e64 v30, v8, 0, s4
	v_cmp_eq_f32_e64 s4, 1.0, v32
	v_bfi_b32 v7, 0x7fffffff, v7, v34
	v_cndmask_b32_e64 v35, 0, v33, s3
	v_cmp_eq_f32_e64 s3, 0x7f800000, v8
	s_delay_alu instid0(VALU_DEP_4) | instskip(NEXT) | instid1(VALU_DEP_4)
	v_cndmask_b32_e64 v30, v30, v32, s4
	v_cndmask_b32_e64 v31, 0x7fc00000, v7, s2
	s_xor_b32 s2, s5, vcc_lo
	s_delay_alu instid0(SALU_CYCLE_1) | instskip(SKIP_1) | instid1(VALU_DEP_1)
	v_cndmask_b32_e64 v34, 0x7f800000, 0, s2
	v_cmp_gt_f32_e64 s2, 0, v33
	v_cndmask_b32_e64 v7, v7, v31, s2
	v_cmp_eq_f32_e64 s2, 0x7f800000, v32
	s_delay_alu instid0(VALU_DEP_4) | instskip(NEXT) | instid1(VALU_DEP_3)
	v_bfi_b32 v31, 0x7fffffff, v34, v35
	v_cndmask_b32_e64 v7, v7, v30, s3
	s_delay_alu instid0(VALU_DEP_3) | instskip(NEXT) | instid1(VALU_DEP_1)
	s_or_b32 vcc_lo, s2, vcc_lo
	v_cndmask_b32_e32 v7, v7, v31, vcc_lo
	s_delay_alu instid0(VALU_DEP_1) | instskip(SKIP_1) | instid1(VALU_DEP_2)
	v_div_scale_f32 v8, null, v7, v7, 1.0
	v_div_scale_f32 v32, vcc_lo, 1.0, v7, 1.0
	v_rcp_f32_e32 v30, v8
	s_waitcnt_depctr 0xfff
	v_fma_f32 v31, -v8, v30, 1.0
	s_delay_alu instid0(VALU_DEP_1) | instskip(NEXT) | instid1(VALU_DEP_1)
	v_fmac_f32_e32 v30, v31, v30
	v_mul_f32_e32 v31, v32, v30
	s_delay_alu instid0(VALU_DEP_1) | instskip(NEXT) | instid1(VALU_DEP_1)
	v_fma_f32 v34, -v8, v31, v32
	v_fmac_f32_e32 v31, v34, v30
	s_delay_alu instid0(VALU_DEP_1) | instskip(NEXT) | instid1(VALU_DEP_1)
	v_fma_f32 v8, -v8, v31, v32
	v_div_fmas_f32 v8, v8, v30, v31
	v_cmp_o_f32_e32 vcc_lo, v33, v33
	s_delay_alu instid0(VALU_DEP_2) | instskip(NEXT) | instid1(VALU_DEP_1)
	v_div_fixup_f32 v7, v8, v7, 1.0
	v_dual_mul_f32 v8, v9, v29 :: v_dual_cndmask_b32 v7, 0x7fc00000, v7
	s_delay_alu instid0(VALU_DEP_1) | instskip(SKIP_1) | instid1(VALU_DEP_2)
	v_mul_f32_e32 v8, v7, v8
	v_fmac_f32_e32 v27, v7, v29
	v_div_scale_f32 v9, null, v26, v26, v8
	s_delay_alu instid0(VALU_DEP_1) | instskip(SKIP_2) | instid1(VALU_DEP_1)
	v_rcp_f32_e32 v30, v9
	s_waitcnt_depctr 0xfff
	v_fma_f32 v31, -v9, v30, 1.0
	v_fmac_f32_e32 v30, v31, v30
	v_div_scale_f32 v31, vcc_lo, v8, v26, v8
	s_delay_alu instid0(VALU_DEP_1) | instskip(NEXT) | instid1(VALU_DEP_1)
	v_mul_f32_e32 v32, v31, v30
	v_fma_f32 v33, -v9, v32, v31
	s_delay_alu instid0(VALU_DEP_1) | instskip(NEXT) | instid1(VALU_DEP_1)
	v_fmac_f32_e32 v32, v33, v30
	v_fma_f32 v9, -v9, v32, v31
	s_delay_alu instid0(VALU_DEP_1) | instskip(NEXT) | instid1(VALU_DEP_1)
	v_div_fmas_f32 v9, v9, v30, v32
	v_div_fixup_f32 v8, v9, v26, v8
	s_delay_alu instid0(VALU_DEP_1)
	v_sub_f32_e32 v28, v28, v8
.LBB0_134:                              ;   in Loop: Header=BB0_135 Depth=1
	s_or_b32 exec_lo, exec_lo, s26
	s_add_i32 s24, s24, 1
	s_add_i32 s12, s12, 52
	v_cmp_eq_u32_e32 vcc_lo, s24, v173
	s_or_b32 s13, vcc_lo, s13
	s_delay_alu instid0(SALU_CYCLE_1)
	s_and_not1_b32 exec_lo, exec_lo, s13
	s_cbranch_execz .LBB0_138
.LBB0_135:                              ; =>This Inner Loop Header: Depth=1
	s_add_i32 s2, s12, 12
	s_mov_b32 s26, exec_lo
	scratch_load_b32 v7, off, s2
	s_waitcnt vmcnt(0)
	v_cmpx_ge_i32_e64 v7, v10
	s_cbranch_execz .LBB0_134
; %bb.136:                              ;   in Loop: Header=BB0_135 Depth=1
	s_add_i32 s2, s12, 48
	s_mov_b32 s3, exec_lo
	s_clause 0x1
	scratch_load_b32 v29, off, s2
	scratch_load_b96 v[7:9], off, s12
	s_waitcnt vmcnt(1)
	v_cmpx_eq_f32_e32 -1.0, v29
	s_cbranch_execz .LBB0_133
; %bb.137:                              ;   in Loop: Header=BB0_135 Depth=1
	s_add_i32 s2, s12, 32
	s_add_i32 s4, s12, 16
	s_clause 0x1
	scratch_load_b96 v[29:31], off, s2
	scratch_load_b96 v[32:34], off, s4
	s_waitcnt vmcnt(1)
	v_cmp_eq_u32_e32 vcc_lo, 31, v30
	s_waitcnt vmcnt(0)
	v_cmp_gt_i32_e64 s2, 30, v33
	v_not_b32_e32 v32, v32
	v_sub_nc_u32_e32 v33, 30, v33
	v_sub_nc_u32_e32 v34, v31, v34
	s_delay_alu instid0(VALU_DEP_4)
	s_and_b32 vcc_lo, vcc_lo, s2
	s_delay_alu instid0(VALU_DEP_3) | instid1(SALU_CYCLE_1)
	v_add_co_ci_u32_e64 v32, s2, v29, v32, vcc_lo
	s_delay_alu instid0(VALU_DEP_3) | instskip(SKIP_1) | instid1(VALU_DEP_3)
	v_max_i32_e32 v29, 0, v33
	v_min_i32_e32 v33, 30, v30
	v_mul_lo_u32 v32, v32, 30
	s_delay_alu instid0(VALU_DEP_3) | instskip(NEXT) | instid1(VALU_DEP_3)
	v_mad_u64_u32 v[30:31], null, 0x168, v34, v[29:30]
	v_cndmask_b32_e64 v29, v33, 1, vcc_lo
	s_delay_alu instid0(VALU_DEP_1) | instskip(NEXT) | instid1(VALU_DEP_1)
	v_add3_u32 v29, v30, v29, v32
	v_cvt_f32_i32_e32 v29, v29
	s_delay_alu instid0(VALU_DEP_1) | instskip(NEXT) | instid1(VALU_DEP_1)
	v_div_scale_f32 v30, null, 0x43b40000, 0x43b40000, v29
	v_rcp_f32_e32 v31, v30
	s_waitcnt_depctr 0xfff
	v_fma_f32 v32, -v30, v31, 1.0
	s_delay_alu instid0(VALU_DEP_1) | instskip(SKIP_1) | instid1(VALU_DEP_1)
	v_fmac_f32_e32 v31, v32, v31
	v_div_scale_f32 v32, vcc_lo, v29, 0x43b40000, v29
	v_mul_f32_e32 v33, v32, v31
	s_delay_alu instid0(VALU_DEP_1) | instskip(NEXT) | instid1(VALU_DEP_1)
	v_fma_f32 v34, -v30, v33, v32
	v_fmac_f32_e32 v33, v34, v31
	s_delay_alu instid0(VALU_DEP_1) | instskip(NEXT) | instid1(VALU_DEP_1)
	v_fma_f32 v30, -v30, v33, v32
	v_div_fmas_f32 v30, v30, v31, v33
	s_delay_alu instid0(VALU_DEP_1) | instskip(NEXT) | instid1(VALU_DEP_1)
	v_div_fixup_f32 v29, v30, 0x43b40000, v29
	v_fma_f32 v29, v160, v29, 1.0
	s_delay_alu instid0(VALU_DEP_1) | instskip(NEXT) | instid1(VALU_DEP_1)
	v_add_f32_e32 v29, -1.0, v29
	v_mul_f32_e32 v29, 0x42c80000, v29
	s_branch .LBB0_133
.LBB0_138:
	s_or_b32 exec_lo, exec_lo, s13
	v_mov_b32_e32 v7, 0
	s_mov_b32 s1, exec_lo
	v_cmpx_neq_f32_e32 0, v27
; %bb.139:
	v_div_scale_f32 v7, null, v27, v27, -v28
	s_delay_alu instid0(VALU_DEP_1) | instskip(SKIP_2) | instid1(VALU_DEP_1)
	v_rcp_f32_e32 v8, v7
	s_waitcnt_depctr 0xfff
	v_fma_f32 v9, -v7, v8, 1.0
	v_fmac_f32_e32 v8, v9, v8
	v_div_scale_f32 v9, vcc_lo, -v28, v27, -v28
	s_delay_alu instid0(VALU_DEP_1) | instskip(NEXT) | instid1(VALU_DEP_1)
	v_mul_f32_e32 v26, v9, v8
	v_fma_f32 v29, -v7, v26, v9
	s_delay_alu instid0(VALU_DEP_1) | instskip(NEXT) | instid1(VALU_DEP_1)
	v_fmac_f32_e32 v26, v29, v8
	v_fma_f32 v7, -v7, v26, v9
	s_delay_alu instid0(VALU_DEP_1) | instskip(NEXT) | instid1(VALU_DEP_1)
	v_div_fmas_f32 v7, v7, v8, v26
	v_div_fixup_f32 v7, v7, v27, -v28
; %bb.140:
	s_or_b32 exec_lo, exec_lo, s1
	s_delay_alu instid0(SALU_CYCLE_1)
	s_mov_b32 s12, exec_lo
	v_cmpx_ne_u32_e32 0x64, v18
	s_cbranch_execz .LBB0_170
; %bb.141:
	v_cmp_gt_f32_e32 vcc_lo, 0, v23
	v_sub_f32_e32 v26, v22, v21
	v_dual_sub_f32 v8, v17, v25 :: v_dual_mov_b32 v25, 0x230
	s_mov_b32 s13, 0
	v_cndmask_b32_e32 v23, v22, v21, vcc_lo
	s_delay_alu instid0(VALU_DEP_3)
	v_mov_b32_e32 v9, v26
	v_cndmask_b32_e32 v21, v21, v22, vcc_lo
	s_mov_b32 s24, 0x3e76c4e1
	s_branch .LBB0_144
.LBB0_142:                              ;   in Loop: Header=BB0_144 Depth=1
	s_or_b32 exec_lo, exec_lo, s1
	v_dual_sub_f32 v8, v17, v27 :: v_dual_add_nc_u32 v9, 1, v18
	v_cmp_lt_i32_e64 s1, 0x62, v18
	s_delay_alu instid0(VALU_DEP_2) | instskip(NEXT) | instid1(VALU_DEP_3)
	v_cmp_gt_f32_e32 vcc_lo, 0, v8
	v_mov_b32_e32 v18, v9
	s_delay_alu instid0(VALU_DEP_3)
	s_or_not1_b32 s1, s1, exec_lo
	v_cndmask_b32_e32 v23, v23, v24, vcc_lo
	v_cndmask_b32_e32 v21, v24, v21, vcc_lo
.LBB0_143:                              ;   in Loop: Header=BB0_144 Depth=1
	s_or_b32 exec_lo, exec_lo, s25
	v_mov_b32_e32 v9, v26
	v_mov_b32_e32 v26, v22
	s_and_b32 s1, exec_lo, s1
	s_delay_alu instid0(SALU_CYCLE_1) | instskip(NEXT) | instid1(SALU_CYCLE_1)
	s_or_b32 s13, s1, s13
	s_and_not1_b32 exec_lo, exec_lo, s13
	s_cbranch_execz .LBB0_169
.LBB0_144:                              ; =>This Loop Header: Depth=1
                                        ;     Child Loop BB0_154 Depth 2
                                        ;     Child Loop BB0_164 Depth 2
	s_delay_alu instid0(VALU_DEP_1) | instskip(SKIP_1) | instid1(VALU_DEP_2)
	v_sub_f32_e32 v22, v24, v21
	v_sub_f32_e32 v27, v24, v23
	v_fma_f32 v22, v7, v22, -v8
	s_delay_alu instid0(VALU_DEP_2) | instskip(NEXT) | instid1(VALU_DEP_1)
	v_fma_f32 v27, v7, v27, -v8
	v_mul_f32_e32 v22, v22, v27
	s_delay_alu instid0(VALU_DEP_1)
	v_cmp_lt_f32_e64 s1, 0, v22
	v_cmp_nlt_f32_e32 vcc_lo, 0, v22
                                        ; implicit-def: $vgpr22
	s_and_saveexec_b32 s2, vcc_lo
	s_cbranch_execz .LBB0_148
; %bb.145:                              ;   in Loop: Header=BB0_144 Depth=1
	v_dual_add_f32 v22, v8, v8 :: v_dual_mul_f32 v9, v7, v9
	s_mov_b32 s4, -1
	s_delay_alu instid0(VALU_DEP_1) | instskip(NEXT) | instid1(VALU_DEP_1)
	v_cmp_ngt_f32_e64 s5, |v22|, |v9|
                                        ; implicit-def: $vgpr22
	s_and_saveexec_b32 s3, s5
	s_cbranch_execz .LBB0_147
; %bb.146:                              ;   in Loop: Header=BB0_144 Depth=1
	v_div_scale_f32 v9, null, v7, v7, v8
	s_xor_b32 s4, exec_lo, -1
	s_delay_alu instid0(VALU_DEP_1) | instskip(SKIP_2) | instid1(VALU_DEP_1)
	v_rcp_f32_e32 v22, v9
	s_waitcnt_depctr 0xfff
	v_fma_f32 v27, -v9, v22, 1.0
	v_fmac_f32_e32 v22, v27, v22
	v_div_scale_f32 v27, vcc_lo, v8, v7, v8
	s_delay_alu instid0(VALU_DEP_1) | instskip(NEXT) | instid1(VALU_DEP_1)
	v_mul_f32_e32 v28, v27, v22
	v_fma_f32 v29, -v9, v28, v27
	s_delay_alu instid0(VALU_DEP_1) | instskip(NEXT) | instid1(VALU_DEP_1)
	v_fmac_f32_e32 v28, v29, v22
	v_fma_f32 v9, -v9, v28, v27
	s_delay_alu instid0(VALU_DEP_1) | instskip(NEXT) | instid1(VALU_DEP_1)
	v_div_fmas_f32 v9, v9, v22, v28
	v_div_fixup_f32 v22, v9, v7, v8
	s_delay_alu instid0(VALU_DEP_1)
	v_sub_f32_e32 v24, v24, v22
.LBB0_147:                              ;   in Loop: Header=BB0_144 Depth=1
	s_or_b32 exec_lo, exec_lo, s3
	s_delay_alu instid0(SALU_CYCLE_1) | instskip(SKIP_1) | instid1(SALU_CYCLE_1)
	s_and_not1_b32 s1, s1, exec_lo
	s_and_b32 s3, s4, exec_lo
	s_or_b32 s1, s1, s3
.LBB0_148:                              ;   in Loop: Header=BB0_144 Depth=1
	s_or_b32 exec_lo, exec_lo, s2
	s_and_saveexec_b32 s2, s1
; %bb.149:                              ;   in Loop: Header=BB0_144 Depth=1
	v_sub_f32_e32 v7, v21, v23
	s_delay_alu instid0(VALU_DEP_1)
	v_mul_f32_e32 v22, 0.5, v7
	v_fma_f32 v24, 0.5, v7, v23
; %bb.150:                              ;   in Loop: Header=BB0_144 Depth=1
	s_or_b32 exec_lo, exec_lo, s2
	s_mov_b32 s1, -1
	s_mov_b32 s25, exec_lo
                                        ; implicit-def: $vgpr7
                                        ; implicit-def: $vgpr8
	v_cmpx_ngt_f32_e64 0x322bcc77, |v22|
	s_cbranch_execz .LBB0_143
; %bb.151:                              ;   in Loop: Header=BB0_144 Depth=1
	v_fma_f32 v28, v24, 0.5, 1.0
	v_readfirstlane_b32 s2, v25
	v_mov_b32_e32 v27, 0
	v_mov_b32_e32 v29, 1.0
	s_mov_b32 s27, -1
	v_cmp_eq_f32_e64 s1, 1.0, v28
	s_mov_b32 s26, s2
	s_mov_b32 s29, -1
	s_mov_b32 s28, 0
                                        ; implicit-def: $vgpr31
                                        ; implicit-def: $vgpr32
                                        ; implicit-def: $vgpr33
	s_branch .LBB0_154
.LBB0_152:                              ;   in Loop: Header=BB0_154 Depth=2
	s_or_b32 exec_lo, exec_lo, s2
	s_delay_alu instid0(VALU_DEP_1) | instskip(SKIP_1) | instid1(VALU_DEP_1)
	v_cvt_f32_i32_e32 v31, v35
	s_and_not1_b32 s27, s27, exec_lo
	v_div_scale_f32 v32, null, 0x43b40000, 0x43b40000, v31
	v_div_scale_f32 v35, vcc_lo, v31, 0x43b40000, v31
	s_delay_alu instid0(VALU_DEP_2) | instskip(SKIP_2) | instid1(VALU_DEP_1)
	v_rcp_f32_e32 v33, v32
	s_waitcnt_depctr 0xfff
	v_fma_f32 v34, -v32, v33, 1.0
	v_fmac_f32_e32 v33, v34, v33
	s_delay_alu instid0(VALU_DEP_1) | instskip(NEXT) | instid1(VALU_DEP_1)
	v_mul_f32_e32 v34, v35, v33
	v_fma_f32 v36, -v32, v34, v35
	s_delay_alu instid0(VALU_DEP_1) | instskip(NEXT) | instid1(VALU_DEP_1)
	v_fmac_f32_e32 v34, v36, v33
	v_fma_f32 v32, -v32, v34, v35
	s_delay_alu instid0(VALU_DEP_1) | instskip(NEXT) | instid1(VALU_DEP_1)
	v_div_fmas_f32 v32, v32, v33, v34
	v_div_fixup_f32 v31, v32, 0x43b40000, v31
	s_delay_alu instid0(VALU_DEP_1) | instskip(NEXT) | instid1(VALU_DEP_1)
	v_add_f32_e32 v33, v31, v31
	v_cndmask_b32_e64 v34, v33, 1.0, s1
	s_delay_alu instid0(VALU_DEP_1) | instskip(SKIP_1) | instid1(VALU_DEP_1)
	v_cmp_eq_f32_e32 vcc_lo, 0, v34
	v_cndmask_b32_e64 v35, |v28|, 1.0, vcc_lo
	v_frexp_mant_f32_e32 v31, v35
	v_cmp_gt_f32_e64 s4, 1.0, v35
	s_delay_alu instid0(VALU_DEP_2) | instskip(NEXT) | instid1(VALU_DEP_1)
	v_cmp_gt_f32_e64 s2, 0x3f2aaaab, v31
	v_cndmask_b32_e64 v32, 1.0, 2.0, s2
	s_delay_alu instid0(VALU_DEP_1) | instskip(NEXT) | instid1(VALU_DEP_1)
	v_mul_f32_e32 v31, v31, v32
	v_add_f32_e32 v32, 1.0, v31
	v_add_f32_e32 v37, -1.0, v31
	s_delay_alu instid0(VALU_DEP_2) | instskip(SKIP_3) | instid1(VALU_DEP_1)
	v_rcp_f32_e32 v36, v32
	v_add_f32_e32 v39, -1.0, v32
	s_waitcnt_depctr 0xfff
	v_mul_f32_e32 v38, v37, v36
	v_dual_mul_f32 v40, v32, v38 :: v_dual_sub_f32 v31, v31, v39
	s_delay_alu instid0(VALU_DEP_1) | instskip(NEXT) | instid1(VALU_DEP_1)
	v_fma_f32 v32, v38, v32, -v40
	v_fmac_f32_e32 v32, v38, v31
	s_delay_alu instid0(VALU_DEP_1) | instskip(NEXT) | instid1(VALU_DEP_1)
	v_add_f32_e32 v31, v40, v32
	v_dual_sub_f32 v39, v37, v31 :: v_dual_sub_f32 v40, v31, v40
	s_delay_alu instid0(VALU_DEP_1) | instskip(NEXT) | instid1(VALU_DEP_1)
	v_dual_sub_f32 v37, v37, v39 :: v_dual_sub_f32 v32, v40, v32
	v_sub_f32_e32 v31, v37, v31
	s_delay_alu instid0(VALU_DEP_1) | instskip(NEXT) | instid1(VALU_DEP_1)
	v_add_f32_e32 v31, v32, v31
	v_add_f32_e32 v31, v39, v31
	s_delay_alu instid0(VALU_DEP_1) | instskip(NEXT) | instid1(VALU_DEP_1)
	v_mul_f32_e32 v31, v36, v31
	v_add_f32_e32 v36, v38, v31
	s_delay_alu instid0(VALU_DEP_1) | instskip(SKIP_1) | instid1(VALU_DEP_1)
	v_sub_f32_e32 v32, v36, v38
	v_mul_f32_e32 v37, v36, v36
	v_fma_f32 v39, v36, v36, -v37
	s_delay_alu instid0(VALU_DEP_3) | instskip(NEXT) | instid1(VALU_DEP_1)
	v_sub_f32_e32 v38, v31, v32
	v_add_f32_e32 v31, v38, v38
	s_delay_alu instid0(VALU_DEP_1) | instskip(SKIP_1) | instid1(VALU_DEP_2)
	v_fmac_f32_e32 v39, v36, v31
	v_cvt_f64_f32_e32 v[31:32], v35
	v_add_f32_e32 v40, v37, v39
	s_delay_alu instid0(VALU_DEP_1) | instskip(SKIP_2) | instid1(VALU_DEP_1)
	v_fmaak_f32 v41, s24, v40, 0x3e91f4c4
	v_mul_f32_e32 v44, v36, v40
	v_sub_f32_e32 v37, v40, v37
	v_sub_f32_e32 v37, v39, v37
	s_delay_alu instid0(VALU_DEP_4) | instskip(NEXT) | instid1(VALU_DEP_1)
	v_fmaak_f32 v41, v40, v41, 0x3ecccdef
	v_mul_f32_e32 v42, v40, v41
	s_delay_alu instid0(VALU_DEP_1) | instskip(NEXT) | instid1(VALU_DEP_1)
	v_fma_f32 v39, v40, v41, -v42
	v_fmac_f32_e32 v39, v37, v41
	s_delay_alu instid0(VALU_DEP_1) | instskip(SKIP_1) | instid1(VALU_DEP_2)
	v_add_f32_e32 v41, v42, v39
	v_frexp_exp_i32_f64_e32 v31, v[31:32]
	v_sub_f32_e32 v42, v41, v42
	s_delay_alu instid0(VALU_DEP_1) | instskip(SKIP_1) | instid1(VALU_DEP_2)
	v_sub_f32_e32 v32, v39, v42
	v_fma_f32 v42, v40, v36, -v44
	v_add_f32_e32 v32, 0x31739010, v32
	s_delay_alu instid0(VALU_DEP_2) | instskip(SKIP_1) | instid1(VALU_DEP_2)
	v_dual_add_f32 v43, 0x3f2aaaaa, v41 :: v_dual_fmac_f32 v42, v40, v38
	v_ldexp_f32 v38, v38, 1
	v_dual_add_f32 v39, 0xbf2aaaaa, v43 :: v_dual_fmac_f32 v42, v37, v36
	s_delay_alu instid0(VALU_DEP_1) | instskip(NEXT) | instid1(VALU_DEP_1)
	v_sub_f32_e32 v39, v41, v39
	v_add_f32_e32 v32, v32, v39
	s_delay_alu instid0(VALU_DEP_3) | instskip(NEXT) | instid1(VALU_DEP_2)
	v_add_f32_e32 v39, v44, v42
	v_add_f32_e32 v37, v43, v32
	v_subrev_co_ci_u32_e64 v31, s2, 0, v31, s2
	s_delay_alu instid0(VALU_DEP_2) | instskip(NEXT) | instid1(VALU_DEP_4)
	v_sub_f32_e32 v40, v43, v37
	v_mul_f32_e32 v41, v39, v37
	s_delay_alu instid0(VALU_DEP_3) | instskip(SKIP_1) | instid1(VALU_DEP_4)
	v_cvt_f32_i32_e32 v31, v31
	v_sub_f32_e32 v43, v39, v44
	v_add_f32_e32 v32, v32, v40
	s_delay_alu instid0(VALU_DEP_4) | instskip(NEXT) | instid1(VALU_DEP_3)
	v_fma_f32 v40, v39, v37, -v41
	v_sub_f32_e32 v42, v42, v43
	s_delay_alu instid0(VALU_DEP_2) | instskip(SKIP_1) | instid1(VALU_DEP_2)
	v_fmac_f32_e32 v40, v39, v32
	v_ldexp_f32 v32, v36, 1
	v_fmac_f32_e32 v40, v42, v37
	s_delay_alu instid0(VALU_DEP_1) | instskip(NEXT) | instid1(VALU_DEP_1)
	v_add_f32_e32 v36, v41, v40
	v_add_f32_e32 v37, v32, v36
	s_delay_alu instid0(VALU_DEP_1) | instskip(NEXT) | instid1(VALU_DEP_1)
	v_dual_sub_f32 v32, v37, v32 :: v_dual_sub_f32 v39, v36, v41
	v_dual_mul_f32 v41, 0x3f317218, v31 :: v_dual_sub_f32 v32, v36, v32
	s_delay_alu instid0(VALU_DEP_2) | instskip(NEXT) | instid1(VALU_DEP_2)
	v_sub_f32_e32 v39, v40, v39
	v_fma_f32 v40, 0x3f317218, v31, -v41
	s_delay_alu instid0(VALU_DEP_2) | instskip(NEXT) | instid1(VALU_DEP_1)
	v_add_f32_e32 v36, v38, v39
	v_dual_fmac_f32 v40, 0xb102e308, v31 :: v_dual_add_f32 v31, v36, v32
	s_delay_alu instid0(VALU_DEP_1) | instskip(NEXT) | instid1(VALU_DEP_2)
	v_add_f32_e32 v32, v41, v40
	v_add_f32_e32 v36, v37, v31
	s_delay_alu instid0(VALU_DEP_1) | instskip(SKIP_1) | instid1(VALU_DEP_1)
	v_add_f32_e32 v38, v32, v36
	v_sub_f32_e32 v41, v32, v41
	v_dual_sub_f32 v39, v38, v32 :: v_dual_sub_f32 v40, v40, v41
	s_delay_alu instid0(VALU_DEP_1) | instskip(NEXT) | instid1(VALU_DEP_1)
	v_dual_sub_f32 v42, v38, v39 :: v_dual_sub_f32 v37, v36, v37
	v_dual_sub_f32 v36, v36, v39 :: v_dual_sub_f32 v31, v31, v37
	s_delay_alu instid0(VALU_DEP_2) | instskip(NEXT) | instid1(VALU_DEP_2)
	v_sub_f32_e32 v32, v32, v42
	v_add_f32_e32 v37, v40, v31
	s_delay_alu instid0(VALU_DEP_2) | instskip(NEXT) | instid1(VALU_DEP_2)
	v_add_f32_e32 v32, v36, v32
	v_sub_f32_e32 v36, v37, v40
	s_delay_alu instid0(VALU_DEP_2) | instskip(NEXT) | instid1(VALU_DEP_2)
	v_add_f32_e32 v32, v37, v32
	v_sub_f32_e32 v37, v37, v36
	s_delay_alu instid0(VALU_DEP_2) | instskip(NEXT) | instid1(VALU_DEP_2)
	v_add_f32_e32 v39, v38, v32
	v_dual_sub_f32 v31, v31, v36 :: v_dual_sub_f32 v36, v40, v37
	s_delay_alu instid0(VALU_DEP_2) | instskip(NEXT) | instid1(VALU_DEP_1)
	v_sub_f32_e32 v37, v39, v38
	v_dual_add_f32 v31, v31, v36 :: v_dual_sub_f32 v32, v32, v37
	s_delay_alu instid0(VALU_DEP_1) | instskip(NEXT) | instid1(VALU_DEP_1)
	v_add_f32_e32 v31, v31, v32
	v_add_f32_e32 v32, v39, v31
	s_delay_alu instid0(VALU_DEP_1) | instskip(NEXT) | instid1(VALU_DEP_1)
	v_dual_sub_f32 v36, v32, v39 :: v_dual_mul_f32 v37, v34, v32
	v_sub_f32_e32 v31, v31, v36
	s_delay_alu instid0(VALU_DEP_2) | instskip(SKIP_1) | instid1(VALU_DEP_2)
	v_fma_f32 v32, v34, v32, -v37
	v_cmp_class_f32_e64 s2, v37, 0x204
	v_fmac_f32_e32 v32, v34, v31
	s_delay_alu instid0(VALU_DEP_1) | instskip(NEXT) | instid1(VALU_DEP_1)
	v_add_f32_e32 v31, v37, v32
	v_cndmask_b32_e64 v36, v31, v37, s2
	s_delay_alu instid0(VALU_DEP_1) | instskip(NEXT) | instid1(VALU_DEP_1)
	v_cmp_eq_f32_e64 s2, 0x42b17218, v36
	v_cndmask_b32_e64 v38, 0, 0x37000000, s2
	v_cmp_neq_f32_e64 s2, 0x7f800000, |v36|
	s_delay_alu instid0(VALU_DEP_2) | instskip(SKIP_1) | instid1(VALU_DEP_2)
	v_sub_f32_e32 v39, v36, v38
	v_trunc_f32_e32 v36, v34
	v_mul_f32_e32 v40, 0x3fb8aa3b, v39
	s_delay_alu instid0(VALU_DEP_1) | instskip(SKIP_1) | instid1(VALU_DEP_1)
	v_fma_f32 v41, 0x3fb8aa3b, v39, -v40
	v_rndne_f32_e32 v42, v40
	v_dual_fmac_f32 v41, 0x32a5705f, v39 :: v_dual_sub_f32 v40, v40, v42
	v_sub_f32_e32 v31, v31, v37
	v_cvt_i32_f32_e32 v37, v42
	s_delay_alu instid0(VALU_DEP_3) | instskip(NEXT) | instid1(VALU_DEP_3)
	v_add_f32_e32 v40, v40, v41
	v_sub_f32_e32 v31, v32, v31
	v_cndmask_b32_e64 v32, |v33|, 1.0, s1
	s_delay_alu instid0(VALU_DEP_3) | instskip(NEXT) | instid1(VALU_DEP_2)
	v_exp_f32_e32 v40, v40
	v_cndmask_b32_e64 v31, 0, v31, s2
	v_cmp_ngt_f32_e64 s2, 0xc2ce8ed0, v39
	s_delay_alu instid0(VALU_DEP_2) | instskip(SKIP_3) | instid1(VALU_DEP_2)
	v_add_f32_e32 v31, v38, v31
	s_waitcnt_depctr 0xfff
	v_ldexp_f32 v33, v40, v37
	v_mul_f32_e32 v37, 0.5, v34
	v_cndmask_b32_e64 v33, 0, v33, s2
	v_cmp_nlt_f32_e64 s2, 0x42b17218, v39
	s_delay_alu instid0(VALU_DEP_3) | instskip(NEXT) | instid1(VALU_DEP_2)
	v_trunc_f32_e32 v40, v37
	v_cndmask_b32_e64 v33, 0x7f800000, v33, s2
	v_cmp_eq_f32_e64 s2, v36, v34
	s_delay_alu instid0(VALU_DEP_3)
	v_cmp_neq_f32_e64 s3, v40, v37
	v_cndmask_b32_e64 v36, v28, 1.0, vcc_lo
	v_cmp_neq_f32_e32 vcc_lo, v34, v32
	v_fma_f32 v31, v33, v31, v33
	v_cmp_class_f32_e64 s5, v33, 0x204
	s_and_b32 s3, s2, s3
	s_delay_alu instid0(SALU_CYCLE_1) | instskip(SKIP_1) | instid1(VALU_DEP_2)
	v_cndmask_b32_e64 v37, 1.0, v36, s3
	s_xor_b32 s4, vcc_lo, s4
	v_cndmask_b32_e64 v31, v31, v33, s5
	v_cmp_gt_f32_e64 s5, 0, v34
	v_cmp_eq_f32_e32 vcc_lo, 0, v36
	v_cndmask_b32_e64 v33, v32, 0, s4
	v_cmp_eq_f32_e64 s4, 1.0, v35
	v_bfi_b32 v31, 0x7fffffff, v31, v37
	v_cndmask_b32_e64 v38, 0, v36, s3
	v_cmp_eq_f32_e64 s3, 0x7f800000, v32
	s_delay_alu instid0(VALU_DEP_4) | instskip(NEXT) | instid1(VALU_DEP_4)
	v_cndmask_b32_e64 v33, v33, v35, s4
	v_cndmask_b32_e64 v34, 0x7fc00000, v31, s2
	s_xor_b32 s2, s5, vcc_lo
	s_delay_alu instid0(SALU_CYCLE_1) | instskip(SKIP_1) | instid1(VALU_DEP_1)
	v_cndmask_b32_e64 v37, 0x7f800000, 0, s2
	v_cmp_gt_f32_e64 s2, 0, v36
	v_cndmask_b32_e64 v31, v31, v34, s2
	v_cmp_eq_f32_e64 s2, 0x7f800000, v35
	s_delay_alu instid0(VALU_DEP_4) | instskip(NEXT) | instid1(VALU_DEP_3)
	v_bfi_b32 v34, 0x7fffffff, v37, v38
	v_cndmask_b32_e64 v31, v31, v33, s3
	s_delay_alu instid0(VALU_DEP_3) | instskip(NEXT) | instid1(VALU_DEP_1)
	s_or_b32 vcc_lo, s2, vcc_lo
	v_cndmask_b32_e32 v31, v31, v34, vcc_lo
	s_delay_alu instid0(VALU_DEP_1) | instskip(SKIP_1) | instid1(VALU_DEP_2)
	v_div_scale_f32 v32, null, v31, v31, 1.0
	v_div_scale_f32 v35, vcc_lo, 1.0, v31, 1.0
	v_rcp_f32_e32 v33, v32
	s_waitcnt_depctr 0xfff
	v_fma_f32 v34, -v32, v33, 1.0
	s_delay_alu instid0(VALU_DEP_1) | instskip(NEXT) | instid1(VALU_DEP_1)
	v_fmac_f32_e32 v33, v34, v33
	v_mul_f32_e32 v34, v35, v33
	s_delay_alu instid0(VALU_DEP_1) | instskip(NEXT) | instid1(VALU_DEP_1)
	v_fma_f32 v37, -v32, v34, v35
	v_fmac_f32_e32 v34, v37, v33
	s_delay_alu instid0(VALU_DEP_1) | instskip(NEXT) | instid1(VALU_DEP_1)
	v_fma_f32 v32, -v32, v34, v35
	v_div_fmas_f32 v32, v32, v33, v34
	v_cmp_o_f32_e32 vcc_lo, v36, v36
	v_mov_b32_e32 v33, v7
	s_delay_alu instid0(VALU_DEP_3) | instskip(NEXT) | instid1(VALU_DEP_1)
	v_div_fixup_f32 v31, v32, v31, 1.0
	v_dual_mov_b32 v32, v8 :: v_dual_cndmask_b32 v31, 0x7fc00000, v31
	s_delay_alu instid0(VALU_DEP_1) | instskip(SKIP_1) | instid1(VALU_DEP_2)
	v_mul_f32_e32 v29, v29, v31
	v_mov_b32_e32 v31, v9
	v_fmac_f32_e32 v27, v30, v29
.LBB0_153:                              ;   in Loop: Header=BB0_154 Depth=2
	s_or_b32 exec_lo, exec_lo, s30
	s_add_i32 s29, s29, 1
	s_add_i32 s26, s26, 52
	v_cmp_eq_u32_e32 vcc_lo, s29, v173
	s_or_b32 s28, vcc_lo, s28
	s_delay_alu instid0(SALU_CYCLE_1)
	s_and_not1_b32 exec_lo, exec_lo, s28
	s_cbranch_execz .LBB0_161
.LBB0_154:                              ;   Parent Loop BB0_144 Depth=1
                                        ; =>  This Inner Loop Header: Depth=2
	s_add_i32 s2, s26, 12
	s_mov_b32 s30, exec_lo
	scratch_load_b32 v7, off, s2
	s_waitcnt vmcnt(0)
	v_cmpx_ge_i32_e64 v7, v10
	s_cbranch_execz .LBB0_153
; %bb.155:                              ;   in Loop: Header=BB0_154 Depth=2
	s_add_i32 s2, s26, 48
	s_mov_b32 s3, exec_lo
	s_clause 0x1
	scratch_load_b32 v30, off, s2
	scratch_load_b96 v[7:9], off, s26
	s_waitcnt vmcnt(1)
	v_cmpx_eq_f32_e32 -1.0, v30
	s_cbranch_execz .LBB0_157
; %bb.156:                              ;   in Loop: Header=BB0_154 Depth=2
	s_add_i32 s2, s26, 32
	s_add_i32 s4, s26, 16
	s_clause 0x1
	scratch_load_b96 v[34:36], off, s2
	scratch_load_b96 v[37:39], off, s4
	s_waitcnt vmcnt(1)
	v_cmp_eq_u32_e32 vcc_lo, 31, v35
	s_waitcnt vmcnt(0)
	v_cmp_gt_i32_e64 s2, 30, v38
	v_not_b32_e32 v30, v37
	v_sub_nc_u32_e32 v37, 30, v38
	v_sub_nc_u32_e32 v36, v36, v39
	s_delay_alu instid0(VALU_DEP_4)
	s_and_b32 vcc_lo, vcc_lo, s2
	s_delay_alu instid0(VALU_DEP_3) | instid1(SALU_CYCLE_1)
	v_add_co_ci_u32_e64 v34, s2, v34, v30, vcc_lo
	s_delay_alu instid0(VALU_DEP_3) | instskip(SKIP_1) | instid1(VALU_DEP_3)
	v_max_i32_e32 v30, 0, v37
	v_min_i32_e32 v37, 30, v35
	v_mul_lo_u32 v38, v34, 30
	s_delay_alu instid0(VALU_DEP_3) | instskip(NEXT) | instid1(VALU_DEP_3)
	v_mad_u64_u32 v[34:35], null, 0x168, v36, v[30:31]
	v_cndmask_b32_e64 v30, v37, 1, vcc_lo
	s_delay_alu instid0(VALU_DEP_1) | instskip(NEXT) | instid1(VALU_DEP_1)
	v_add3_u32 v30, v34, v30, v38
	v_cvt_f32_i32_e32 v30, v30
	s_delay_alu instid0(VALU_DEP_1) | instskip(NEXT) | instid1(VALU_DEP_1)
	v_div_scale_f32 v34, null, 0x43b40000, 0x43b40000, v30
	v_rcp_f32_e32 v35, v34
	s_waitcnt_depctr 0xfff
	v_fma_f32 v36, -v34, v35, 1.0
	s_delay_alu instid0(VALU_DEP_1) | instskip(SKIP_1) | instid1(VALU_DEP_1)
	v_fmac_f32_e32 v35, v36, v35
	v_div_scale_f32 v36, vcc_lo, v30, 0x43b40000, v30
	v_mul_f32_e32 v37, v36, v35
	s_delay_alu instid0(VALU_DEP_1) | instskip(NEXT) | instid1(VALU_DEP_1)
	v_fma_f32 v38, -v34, v37, v36
	v_fmac_f32_e32 v37, v38, v35
	s_delay_alu instid0(VALU_DEP_1) | instskip(NEXT) | instid1(VALU_DEP_1)
	v_fma_f32 v34, -v34, v37, v36
	v_div_fmas_f32 v34, v34, v35, v37
	s_delay_alu instid0(VALU_DEP_1) | instskip(NEXT) | instid1(VALU_DEP_1)
	v_div_fixup_f32 v30, v34, 0x43b40000, v30
	v_fma_f32 v30, v160, v30, 1.0
	s_delay_alu instid0(VALU_DEP_1) | instskip(NEXT) | instid1(VALU_DEP_1)
	v_add_f32_e32 v30, -1.0, v30
	v_mul_f32_e32 v30, 0x42c80000, v30
.LBB0_157:                              ;   in Loop: Header=BB0_154 Depth=2
	s_or_b32 exec_lo, exec_lo, s3
	s_waitcnt vmcnt(0)
	v_cmp_eq_u32_e32 vcc_lo, 31, v8
	v_min_i32_e32 v34, 30, v8
	s_xor_b32 s2, s27, -1
                                        ; implicit-def: $vgpr35
	s_delay_alu instid0(SALU_CYCLE_1) | instskip(NEXT) | instid1(SALU_CYCLE_1)
	s_and_saveexec_b32 s3, s2
	s_xor_b32 s3, exec_lo, s3
	s_cbranch_execz .LBB0_159
; %bb.158:                              ;   in Loop: Header=BB0_154 Depth=2
	v_cmp_gt_i32_e64 s2, 30, v32
	v_not_b32_e32 v33, v33
	v_sub_nc_u32_e32 v32, 30, v32
	s_delay_alu instid0(VALU_DEP_3) | instskip(NEXT) | instid1(SALU_CYCLE_1)
	s_and_b32 s2, vcc_lo, s2
	v_cndmask_b32_e64 v35, 0, 1, s2
	s_delay_alu instid0(VALU_DEP_1) | instskip(SKIP_2) | instid1(VALU_DEP_3)
	v_add3_u32 v33, v7, v33, v35
	v_sub_nc_u32_e32 v35, v9, v31
	v_max_i32_e32 v31, 0, v32
	v_mul_lo_u32 v36, v33, 30
	s_delay_alu instid0(VALU_DEP_2) | instskip(SKIP_1) | instid1(VALU_DEP_1)
	v_mad_u64_u32 v[32:33], null, 0x168, v35, v[31:32]
	v_cndmask_b32_e64 v31, v34, 1, s2
                                        ; implicit-def: $vgpr34
	v_add3_u32 v35, v32, v31, v36
.LBB0_159:                              ;   in Loop: Header=BB0_154 Depth=2
	s_and_not1_saveexec_b32 s2, s3
	s_cbranch_execz .LBB0_152
; %bb.160:                              ;   in Loop: Header=BB0_154 Depth=2
	s_and_b32 s3, vcc_lo, s0
	v_sub_nc_u32_e32 v33, v9, v6
	v_cndmask_b32_e64 v31, 0, 1, s3
	s_delay_alu instid0(VALU_DEP_1) | instskip(NEXT) | instid1(VALU_DEP_1)
	v_add3_u32 v31, v7, v5, v31
	v_mul_lo_u32 v35, v31, 30
	s_delay_alu instid0(VALU_DEP_4) | instskip(SKIP_1) | instid1(VALU_DEP_1)
	v_mad_u64_u32 v[31:32], null, 0x168, v33, v[4:5]
	v_cndmask_b32_e64 v32, v34, 1, s3
	v_add3_u32 v35, v31, v32, v35
	s_branch .LBB0_152
.LBB0_161:                              ;   in Loop: Header=BB0_144 Depth=1
	s_or_b32 exec_lo, exec_lo, s28
	v_readfirstlane_b32 s2, v25
	v_dual_mov_b32 v29, 0 :: v_dual_mov_b32 v30, 0
	v_mov_b32_e32 v31, v20
	s_mov_b32 s26, 0
	s_delay_alu instid0(VALU_DEP_3)
	s_mov_b32 s27, s2
	s_branch .LBB0_164
.LBB0_162:                              ;   in Loop: Header=BB0_164 Depth=2
	s_or_b32 exec_lo, exec_lo, s3
	s_waitcnt vmcnt(0)
	v_cmp_eq_u32_e32 vcc_lo, 31, v8
	v_sub_nc_u32_e32 v9, v9, v6
	v_min_i32_e32 v34, 30, v8
	s_and_b32 s2, vcc_lo, s0
	s_delay_alu instid0(SALU_CYCLE_1) | instskip(NEXT) | instid1(VALU_DEP_1)
	v_cndmask_b32_e64 v33, 0, 1, s2
	v_add3_u32 v33, v7, v5, v33
	v_mad_u64_u32 v[7:8], null, 0x168, v9, v[4:5]
	v_cndmask_b32_e64 v9, v34, 1, s2
	s_delay_alu instid0(VALU_DEP_3) | instskip(NEXT) | instid1(VALU_DEP_1)
	v_mul_lo_u32 v8, v33, 30
	v_add3_u32 v7, v7, v9, v8
	s_delay_alu instid0(VALU_DEP_1) | instskip(NEXT) | instid1(VALU_DEP_1)
	v_cvt_f32_i32_e32 v7, v7
	v_div_scale_f32 v8, null, 0x43b40000, 0x43b40000, v7
	v_div_scale_f32 v34, vcc_lo, v7, 0x43b40000, v7
	s_delay_alu instid0(VALU_DEP_2) | instskip(SKIP_2) | instid1(VALU_DEP_1)
	v_rcp_f32_e32 v9, v8
	s_waitcnt_depctr 0xfff
	v_fma_f32 v33, -v8, v9, 1.0
	v_fmac_f32_e32 v9, v33, v9
	s_delay_alu instid0(VALU_DEP_1) | instskip(NEXT) | instid1(VALU_DEP_1)
	v_mul_f32_e32 v33, v34, v9
	v_fma_f32 v35, -v8, v33, v34
	s_delay_alu instid0(VALU_DEP_1) | instskip(NEXT) | instid1(VALU_DEP_1)
	v_fmac_f32_e32 v33, v35, v9
	v_fma_f32 v8, -v8, v33, v34
	s_delay_alu instid0(VALU_DEP_1) | instskip(NEXT) | instid1(VALU_DEP_1)
	v_div_fmas_f32 v8, v8, v9, v33
	v_div_fixup_f32 v9, v8, 0x43b40000, v7
	s_delay_alu instid0(VALU_DEP_1) | instskip(NEXT) | instid1(VALU_DEP_1)
	v_add_f32_e32 v33, v9, v9
	v_cndmask_b32_e64 v34, v33, 1.0, s1
	s_delay_alu instid0(VALU_DEP_1) | instskip(SKIP_1) | instid1(VALU_DEP_1)
	v_cmp_eq_f32_e32 vcc_lo, 0, v34
	v_cndmask_b32_e64 v35, |v28|, 1.0, vcc_lo
	v_frexp_mant_f32_e32 v7, v35
	v_cmp_gt_f32_e64 s4, 1.0, v35
	s_delay_alu instid0(VALU_DEP_2) | instskip(NEXT) | instid1(VALU_DEP_1)
	v_cmp_gt_f32_e64 s2, 0x3f2aaaab, v7
	v_cndmask_b32_e64 v8, 1.0, 2.0, s2
	s_delay_alu instid0(VALU_DEP_1) | instskip(NEXT) | instid1(VALU_DEP_1)
	v_mul_f32_e32 v7, v7, v8
	v_add_f32_e32 v8, 1.0, v7
	v_add_f32_e32 v37, -1.0, v7
	s_delay_alu instid0(VALU_DEP_2) | instskip(SKIP_2) | instid1(VALU_DEP_1)
	v_rcp_f32_e32 v36, v8
	s_waitcnt_depctr 0xfff
	v_mul_f32_e32 v38, v37, v36
	v_dual_add_f32 v39, -1.0, v8 :: v_dual_mul_f32 v40, v8, v38
	s_delay_alu instid0(VALU_DEP_1) | instskip(NEXT) | instid1(VALU_DEP_2)
	v_sub_f32_e32 v7, v7, v39
	v_fma_f32 v8, v38, v8, -v40
	s_delay_alu instid0(VALU_DEP_1) | instskip(NEXT) | instid1(VALU_DEP_1)
	v_fmac_f32_e32 v8, v38, v7
	v_add_f32_e32 v7, v40, v8
	s_delay_alu instid0(VALU_DEP_1) | instskip(NEXT) | instid1(VALU_DEP_1)
	v_dual_sub_f32 v40, v7, v40 :: v_dual_sub_f32 v39, v37, v7
	v_dual_sub_f32 v8, v40, v8 :: v_dual_sub_f32 v37, v37, v39
	s_delay_alu instid0(VALU_DEP_1) | instskip(NEXT) | instid1(VALU_DEP_1)
	v_sub_f32_e32 v7, v37, v7
	v_add_f32_e32 v7, v8, v7
	s_delay_alu instid0(VALU_DEP_1) | instskip(NEXT) | instid1(VALU_DEP_1)
	v_add_f32_e32 v7, v39, v7
	v_mul_f32_e32 v7, v36, v7
	s_delay_alu instid0(VALU_DEP_1) | instskip(NEXT) | instid1(VALU_DEP_1)
	v_add_f32_e32 v36, v38, v7
	v_sub_f32_e32 v8, v36, v38
	v_mul_f32_e32 v37, v36, v36
	s_delay_alu instid0(VALU_DEP_2) | instskip(NEXT) | instid1(VALU_DEP_2)
	v_sub_f32_e32 v38, v7, v8
	v_fma_f32 v39, v36, v36, -v37
	s_delay_alu instid0(VALU_DEP_2) | instskip(NEXT) | instid1(VALU_DEP_1)
	v_add_f32_e32 v7, v38, v38
	v_fmac_f32_e32 v39, v36, v7
	v_cvt_f64_f32_e32 v[7:8], v35
	s_delay_alu instid0(VALU_DEP_2) | instskip(NEXT) | instid1(VALU_DEP_1)
	v_add_f32_e32 v40, v37, v39
	v_fmaak_f32 v41, s24, v40, 0x3e91f4c4
	v_sub_f32_e32 v37, v40, v37
	v_mul_f32_e32 v44, v36, v40
	s_delay_alu instid0(VALU_DEP_3) | instskip(NEXT) | instid1(VALU_DEP_3)
	v_fmaak_f32 v41, v40, v41, 0x3ecccdef
	v_sub_f32_e32 v37, v39, v37
	s_delay_alu instid0(VALU_DEP_2) | instskip(NEXT) | instid1(VALU_DEP_1)
	v_mul_f32_e32 v42, v40, v41
	v_fma_f32 v39, v40, v41, -v42
	s_delay_alu instid0(VALU_DEP_1) | instskip(NEXT) | instid1(VALU_DEP_1)
	v_fmac_f32_e32 v39, v37, v41
	v_add_f32_e32 v41, v42, v39
	v_frexp_exp_i32_f64_e32 v7, v[7:8]
	s_delay_alu instid0(VALU_DEP_2) | instskip(NEXT) | instid1(VALU_DEP_1)
	v_dual_sub_f32 v42, v41, v42 :: v_dual_add_f32 v43, 0x3f2aaaaa, v41
	v_dual_sub_f32 v8, v39, v42 :: v_dual_add_f32 v39, 0xbf2aaaaa, v43
	v_fma_f32 v42, v40, v36, -v44
	s_delay_alu instid0(VALU_DEP_2) | instskip(NEXT) | instid1(VALU_DEP_2)
	v_dual_add_f32 v8, 0x31739010, v8 :: v_dual_sub_f32 v39, v41, v39
	v_fmac_f32_e32 v42, v40, v38
	v_ldexp_f32 v38, v38, 1
	s_delay_alu instid0(VALU_DEP_3) | instskip(NEXT) | instid1(VALU_DEP_3)
	v_add_f32_e32 v8, v8, v39
	v_fmac_f32_e32 v42, v37, v36
	s_delay_alu instid0(VALU_DEP_2) | instskip(NEXT) | instid1(VALU_DEP_1)
	v_add_f32_e32 v37, v43, v8
	v_sub_f32_e32 v40, v43, v37
	s_delay_alu instid0(VALU_DEP_1) | instskip(SKIP_1) | instid1(VALU_DEP_1)
	v_add_f32_e32 v8, v8, v40
	v_subrev_co_ci_u32_e64 v7, s2, 0, v7, s2
	v_cvt_f32_i32_e32 v7, v7
	v_add_f32_e32 v39, v44, v42
	s_delay_alu instid0(VALU_DEP_1) | instskip(SKIP_1) | instid1(VALU_DEP_2)
	v_mul_f32_e32 v41, v39, v37
	v_sub_f32_e32 v43, v39, v44
	v_fma_f32 v40, v39, v37, -v41
	s_delay_alu instid0(VALU_DEP_2) | instskip(NEXT) | instid1(VALU_DEP_2)
	v_sub_f32_e32 v42, v42, v43
	v_fmac_f32_e32 v40, v39, v8
	v_ldexp_f32 v8, v36, 1
	s_delay_alu instid0(VALU_DEP_2) | instskip(NEXT) | instid1(VALU_DEP_1)
	v_fmac_f32_e32 v40, v42, v37
	v_add_f32_e32 v36, v41, v40
	s_delay_alu instid0(VALU_DEP_1) | instskip(SKIP_1) | instid1(VALU_DEP_2)
	v_add_f32_e32 v37, v8, v36
	v_sub_f32_e32 v39, v36, v41
	v_dual_mul_f32 v41, 0x3f317218, v7 :: v_dual_sub_f32 v8, v37, v8
	s_delay_alu instid0(VALU_DEP_2) | instskip(NEXT) | instid1(VALU_DEP_2)
	v_sub_f32_e32 v39, v40, v39
	v_fma_f32 v40, 0x3f317218, v7, -v41
	s_delay_alu instid0(VALU_DEP_3) | instskip(NEXT) | instid1(VALU_DEP_3)
	v_sub_f32_e32 v8, v36, v8
	v_add_f32_e32 v36, v38, v39
	s_delay_alu instid0(VALU_DEP_1) | instskip(NEXT) | instid1(VALU_DEP_1)
	v_dual_fmac_f32 v40, 0xb102e308, v7 :: v_dual_add_f32 v7, v36, v8
	v_add_f32_e32 v8, v41, v40
	s_delay_alu instid0(VALU_DEP_1) | instskip(NEXT) | instid1(VALU_DEP_1)
	v_dual_add_f32 v36, v37, v7 :: v_dual_sub_f32 v41, v8, v41
	v_add_f32_e32 v38, v8, v36
	v_sub_f32_e32 v37, v36, v37
	s_delay_alu instid0(VALU_DEP_2) | instskip(NEXT) | instid1(VALU_DEP_1)
	v_dual_sub_f32 v40, v40, v41 :: v_dual_sub_f32 v39, v38, v8
	v_dual_sub_f32 v7, v7, v37 :: v_dual_sub_f32 v36, v36, v39
	v_sub_f32_e32 v42, v38, v39
	s_delay_alu instid0(VALU_DEP_2) | instskip(NEXT) | instid1(VALU_DEP_2)
	v_add_f32_e32 v37, v40, v7
	v_sub_f32_e32 v8, v8, v42
	s_delay_alu instid0(VALU_DEP_1) | instskip(NEXT) | instid1(VALU_DEP_3)
	v_add_f32_e32 v8, v36, v8
	v_sub_f32_e32 v36, v37, v40
	s_delay_alu instid0(VALU_DEP_2) | instskip(NEXT) | instid1(VALU_DEP_2)
	v_add_f32_e32 v8, v37, v8
	v_sub_f32_e32 v7, v7, v36
	s_delay_alu instid0(VALU_DEP_2) | instskip(SKIP_1) | instid1(VALU_DEP_1)
	v_add_f32_e32 v39, v38, v8
	v_sub_f32_e32 v37, v37, v36
	v_dual_sub_f32 v36, v40, v37 :: v_dual_sub_f32 v37, v39, v38
	s_delay_alu instid0(VALU_DEP_1) | instskip(NEXT) | instid1(VALU_DEP_1)
	v_dual_sub_f32 v8, v8, v37 :: v_dual_add_f32 v7, v7, v36
	v_add_f32_e32 v7, v7, v8
	s_delay_alu instid0(VALU_DEP_1) | instskip(NEXT) | instid1(VALU_DEP_1)
	v_add_f32_e32 v8, v39, v7
	v_dual_sub_f32 v36, v8, v39 :: v_dual_mul_f32 v37, v34, v8
	s_delay_alu instid0(VALU_DEP_1) | instskip(NEXT) | instid1(VALU_DEP_2)
	v_sub_f32_e32 v7, v7, v36
	v_fma_f32 v8, v34, v8, -v37
	v_cmp_class_f32_e64 s2, v37, 0x204
	s_delay_alu instid0(VALU_DEP_2) | instskip(NEXT) | instid1(VALU_DEP_1)
	v_fmac_f32_e32 v8, v34, v7
	v_add_f32_e32 v7, v37, v8
	s_delay_alu instid0(VALU_DEP_1) | instskip(SKIP_1) | instid1(VALU_DEP_2)
	v_cndmask_b32_e64 v36, v7, v37, s2
	v_sub_f32_e32 v7, v7, v37
	v_cmp_eq_f32_e64 s2, 0x42b17218, v36
	s_delay_alu instid0(VALU_DEP_2) | instskip(SKIP_1) | instid1(VALU_DEP_3)
	v_sub_f32_e32 v7, v8, v7
	v_cndmask_b32_e64 v8, |v33|, 1.0, s1
	v_cndmask_b32_e64 v38, 0, 0x37000000, s2
	v_cmp_neq_f32_e64 s2, 0x7f800000, |v36|
	s_delay_alu instid0(VALU_DEP_2) | instskip(NEXT) | instid1(VALU_DEP_2)
	v_sub_f32_e32 v39, v36, v38
	v_cndmask_b32_e64 v7, 0, v7, s2
	v_trunc_f32_e32 v36, v34
	s_delay_alu instid0(VALU_DEP_3) | instskip(SKIP_1) | instid1(VALU_DEP_4)
	v_mul_f32_e32 v40, 0x3fb8aa3b, v39
	v_cmp_ngt_f32_e64 s2, 0xc2ce8ed0, v39
	v_add_f32_e32 v7, v38, v7
	s_delay_alu instid0(VALU_DEP_3) | instskip(SKIP_1) | instid1(VALU_DEP_1)
	v_fma_f32 v41, 0x3fb8aa3b, v39, -v40
	v_rndne_f32_e32 v42, v40
	v_dual_fmac_f32 v41, 0x32a5705f, v39 :: v_dual_sub_f32 v40, v40, v42
	v_cvt_i32_f32_e32 v37, v42
	s_delay_alu instid0(VALU_DEP_2) | instskip(NEXT) | instid1(VALU_DEP_1)
	v_add_f32_e32 v40, v40, v41
	v_exp_f32_e32 v40, v40
	s_waitcnt_depctr 0xfff
	v_ldexp_f32 v33, v40, v37
	v_mul_f32_e32 v37, 0.5, v34
	s_delay_alu instid0(VALU_DEP_2) | instskip(SKIP_1) | instid1(VALU_DEP_3)
	v_cndmask_b32_e64 v33, 0, v33, s2
	v_cmp_nlt_f32_e64 s2, 0x42b17218, v39
	v_trunc_f32_e32 v40, v37
	s_delay_alu instid0(VALU_DEP_2) | instskip(SKIP_1) | instid1(VALU_DEP_3)
	v_cndmask_b32_e64 v33, 0x7f800000, v33, s2
	v_cmp_eq_f32_e64 s2, v36, v34
	v_cmp_neq_f32_e64 s3, v40, v37
	v_cndmask_b32_e64 v36, v28, 1.0, vcc_lo
	v_cmp_neq_f32_e32 vcc_lo, v34, v8
	v_fma_f32 v7, v33, v7, v33
	v_cmp_class_f32_e64 s5, v33, 0x204
	s_and_b32 s3, s2, s3
	s_delay_alu instid0(SALU_CYCLE_1) | instskip(SKIP_1) | instid1(VALU_DEP_2)
	v_cndmask_b32_e64 v37, 1.0, v36, s3
	s_xor_b32 s4, vcc_lo, s4
	v_cndmask_b32_e64 v7, v7, v33, s5
	v_cmp_gt_f32_e64 s5, 0, v34
	v_cmp_eq_f32_e32 vcc_lo, 0, v36
	v_cndmask_b32_e64 v33, v8, 0, s4
	v_cmp_eq_f32_e64 s4, 1.0, v35
	v_bfi_b32 v7, 0x7fffffff, v7, v37
	v_cndmask_b32_e64 v38, 0, v36, s3
	v_cmp_eq_f32_e64 s3, 0x7f800000, v8
	s_delay_alu instid0(VALU_DEP_4) | instskip(NEXT) | instid1(VALU_DEP_4)
	v_cndmask_b32_e64 v33, v33, v35, s4
	v_cndmask_b32_e64 v34, 0x7fc00000, v7, s2
	s_xor_b32 s2, s5, vcc_lo
	s_delay_alu instid0(SALU_CYCLE_1) | instskip(SKIP_1) | instid1(VALU_DEP_1)
	v_cndmask_b32_e64 v37, 0x7f800000, 0, s2
	v_cmp_gt_f32_e64 s2, 0, v36
	v_cndmask_b32_e64 v7, v7, v34, s2
	v_cmp_eq_f32_e64 s2, 0x7f800000, v35
	s_delay_alu instid0(VALU_DEP_4) | instskip(NEXT) | instid1(VALU_DEP_3)
	v_bfi_b32 v34, 0x7fffffff, v37, v38
	v_cndmask_b32_e64 v7, v7, v33, s3
	s_delay_alu instid0(VALU_DEP_3) | instskip(NEXT) | instid1(VALU_DEP_1)
	s_or_b32 vcc_lo, s2, vcc_lo
	v_cndmask_b32_e32 v7, v7, v34, vcc_lo
	s_delay_alu instid0(VALU_DEP_1) | instskip(SKIP_1) | instid1(VALU_DEP_2)
	v_div_scale_f32 v8, null, v7, v7, 1.0
	v_div_scale_f32 v35, vcc_lo, 1.0, v7, 1.0
	v_rcp_f32_e32 v33, v8
	s_waitcnt_depctr 0xfff
	v_fma_f32 v34, -v8, v33, 1.0
	s_delay_alu instid0(VALU_DEP_1) | instskip(NEXT) | instid1(VALU_DEP_1)
	v_fmac_f32_e32 v33, v34, v33
	v_mul_f32_e32 v34, v35, v33
	s_delay_alu instid0(VALU_DEP_1) | instskip(NEXT) | instid1(VALU_DEP_1)
	v_fma_f32 v37, -v8, v34, v35
	v_fmac_f32_e32 v34, v37, v33
	s_delay_alu instid0(VALU_DEP_1) | instskip(NEXT) | instid1(VALU_DEP_1)
	v_fma_f32 v8, -v8, v34, v35
	v_div_fmas_f32 v8, v8, v33, v34
	v_cmp_o_f32_e32 vcc_lo, v36, v36
	s_delay_alu instid0(VALU_DEP_2) | instskip(NEXT) | instid1(VALU_DEP_1)
	v_div_fixup_f32 v7, v8, v7, 1.0
	v_dual_mul_f32 v8, v9, v32 :: v_dual_cndmask_b32 v7, 0x7fc00000, v7
	s_delay_alu instid0(VALU_DEP_1) | instskip(SKIP_1) | instid1(VALU_DEP_2)
	v_mul_f32_e32 v8, v7, v8
	v_fmac_f32_e32 v29, v7, v32
	v_div_scale_f32 v9, null, v28, v28, v8
	s_delay_alu instid0(VALU_DEP_1) | instskip(SKIP_2) | instid1(VALU_DEP_1)
	v_rcp_f32_e32 v33, v9
	s_waitcnt_depctr 0xfff
	v_fma_f32 v34, -v9, v33, 1.0
	v_fmac_f32_e32 v33, v34, v33
	v_div_scale_f32 v34, vcc_lo, v8, v28, v8
	s_delay_alu instid0(VALU_DEP_1) | instskip(NEXT) | instid1(VALU_DEP_1)
	v_mul_f32_e32 v35, v34, v33
	v_fma_f32 v36, -v9, v35, v34
	s_delay_alu instid0(VALU_DEP_1) | instskip(NEXT) | instid1(VALU_DEP_1)
	v_fmac_f32_e32 v35, v36, v33
	v_fma_f32 v9, -v9, v35, v34
	s_delay_alu instid0(VALU_DEP_1) | instskip(NEXT) | instid1(VALU_DEP_1)
	v_div_fmas_f32 v9, v9, v33, v35
	v_div_fixup_f32 v8, v9, v28, v8
	s_delay_alu instid0(VALU_DEP_1)
	v_sub_f32_e32 v30, v30, v8
.LBB0_163:                              ;   in Loop: Header=BB0_164 Depth=2
	s_or_b32 exec_lo, exec_lo, s28
	v_add_nc_u32_e32 v31, -1, v31
	s_add_i32 s27, s27, 52
	s_delay_alu instid0(VALU_DEP_1) | instskip(SKIP_1) | instid1(SALU_CYCLE_1)
	v_cmp_eq_u32_e32 vcc_lo, 0, v31
	s_or_b32 s26, vcc_lo, s26
	s_and_not1_b32 exec_lo, exec_lo, s26
	s_cbranch_execz .LBB0_167
.LBB0_164:                              ;   Parent Loop BB0_144 Depth=1
                                        ; =>  This Inner Loop Header: Depth=2
	s_add_i32 s2, s27, 12
	s_mov_b32 s28, exec_lo
	scratch_load_b32 v7, off, s2
	s_waitcnt vmcnt(0)
	v_cmpx_ge_i32_e64 v7, v10
	s_cbranch_execz .LBB0_163
; %bb.165:                              ;   in Loop: Header=BB0_164 Depth=2
	s_add_i32 s2, s27, 48
	s_mov_b32 s3, exec_lo
	s_clause 0x1
	scratch_load_b32 v32, off, s2
	scratch_load_b96 v[7:9], off, s27
	s_waitcnt vmcnt(1)
	v_cmpx_eq_f32_e32 -1.0, v32
	s_cbranch_execz .LBB0_162
; %bb.166:                              ;   in Loop: Header=BB0_164 Depth=2
	s_add_i32 s2, s27, 32
	s_add_i32 s4, s27, 16
	s_clause 0x1
	scratch_load_b96 v[32:34], off, s2
	scratch_load_b96 v[35:37], off, s4
	s_waitcnt vmcnt(1)
	v_cmp_eq_u32_e32 vcc_lo, 31, v33
	s_waitcnt vmcnt(0)
	v_cmp_gt_i32_e64 s2, 30, v36
	v_not_b32_e32 v35, v35
	v_sub_nc_u32_e32 v36, 30, v36
	v_sub_nc_u32_e32 v37, v34, v37
	s_delay_alu instid0(VALU_DEP_4)
	s_and_b32 vcc_lo, vcc_lo, s2
	s_delay_alu instid0(VALU_DEP_3) | instid1(SALU_CYCLE_1)
	v_add_co_ci_u32_e64 v35, s2, v32, v35, vcc_lo
	s_delay_alu instid0(VALU_DEP_3) | instskip(SKIP_1) | instid1(VALU_DEP_3)
	v_max_i32_e32 v32, 0, v36
	v_min_i32_e32 v36, 30, v33
	v_mul_lo_u32 v35, v35, 30
	s_delay_alu instid0(VALU_DEP_3) | instskip(NEXT) | instid1(VALU_DEP_3)
	v_mad_u64_u32 v[33:34], null, 0x168, v37, v[32:33]
	v_cndmask_b32_e64 v32, v36, 1, vcc_lo
	s_delay_alu instid0(VALU_DEP_1) | instskip(NEXT) | instid1(VALU_DEP_1)
	v_add3_u32 v32, v33, v32, v35
	v_cvt_f32_i32_e32 v32, v32
	s_delay_alu instid0(VALU_DEP_1) | instskip(NEXT) | instid1(VALU_DEP_1)
	v_div_scale_f32 v33, null, 0x43b40000, 0x43b40000, v32
	v_rcp_f32_e32 v34, v33
	s_waitcnt_depctr 0xfff
	v_fma_f32 v35, -v33, v34, 1.0
	s_delay_alu instid0(VALU_DEP_1) | instskip(SKIP_1) | instid1(VALU_DEP_1)
	v_fmac_f32_e32 v34, v35, v34
	v_div_scale_f32 v35, vcc_lo, v32, 0x43b40000, v32
	v_mul_f32_e32 v36, v35, v34
	s_delay_alu instid0(VALU_DEP_1) | instskip(NEXT) | instid1(VALU_DEP_1)
	v_fma_f32 v37, -v33, v36, v35
	v_fmac_f32_e32 v36, v37, v34
	s_delay_alu instid0(VALU_DEP_1) | instskip(NEXT) | instid1(VALU_DEP_1)
	v_fma_f32 v33, -v33, v36, v35
	v_div_fmas_f32 v33, v33, v34, v36
	s_delay_alu instid0(VALU_DEP_1) | instskip(NEXT) | instid1(VALU_DEP_1)
	v_div_fixup_f32 v32, v33, 0x43b40000, v32
	v_fma_f32 v32, v160, v32, 1.0
	s_delay_alu instid0(VALU_DEP_1) | instskip(NEXT) | instid1(VALU_DEP_1)
	v_add_f32_e32 v32, -1.0, v32
	v_mul_f32_e32 v32, 0x42c80000, v32
	s_branch .LBB0_162
.LBB0_167:                              ;   in Loop: Header=BB0_144 Depth=1
	s_or_b32 exec_lo, exec_lo, s26
	v_mov_b32_e32 v7, 0
	s_mov_b32 s1, exec_lo
	v_cmpx_neq_f32_e32 0, v29
	s_cbranch_execz .LBB0_142
; %bb.168:                              ;   in Loop: Header=BB0_144 Depth=1
	v_div_scale_f32 v7, null, v29, v29, -v30
	s_delay_alu instid0(VALU_DEP_1) | instskip(SKIP_2) | instid1(VALU_DEP_1)
	v_rcp_f32_e32 v8, v7
	s_waitcnt_depctr 0xfff
	v_fma_f32 v9, -v7, v8, 1.0
	v_fmac_f32_e32 v8, v9, v8
	v_div_scale_f32 v9, vcc_lo, -v30, v29, -v30
	s_delay_alu instid0(VALU_DEP_1) | instskip(NEXT) | instid1(VALU_DEP_1)
	v_mul_f32_e32 v28, v9, v8
	v_fma_f32 v31, -v7, v28, v9
	s_delay_alu instid0(VALU_DEP_1) | instskip(NEXT) | instid1(VALU_DEP_1)
	v_fmac_f32_e32 v28, v31, v8
	v_fma_f32 v7, -v7, v28, v9
	s_delay_alu instid0(VALU_DEP_1) | instskip(NEXT) | instid1(VALU_DEP_1)
	v_div_fmas_f32 v7, v7, v8, v28
	v_div_fixup_f32 v7, v7, v29, -v30
	s_branch .LBB0_142
.LBB0_169:
	s_or_b32 exec_lo, exec_lo, s13
.LBB0_170:
	s_delay_alu instid0(SALU_CYCLE_1)
	s_or_b32 exec_lo, exec_lo, s12
	v_mov_b32_e32 v22, v24
.LBB0_171:
	s_or_b32 exec_lo, exec_lo, s9
	s_delay_alu instid0(VALU_DEP_1)
	v_mov_b32_e32 v21, v22
.LBB0_172:
	s_or_b32 exec_lo, exec_lo, s8
	s_delay_alu instid0(VALU_DEP_1)
	v_mov_b32_e32 v29, v21
.LBB0_173:
	s_or_b32 exec_lo, exec_lo, s7
.LBB0_174:
	s_delay_alu instid0(SALU_CYCLE_1)
	s_or_b32 exec_lo, exec_lo, s6
	v_lshlrev_b64 v[4:5], 6, v[169:170]
	s_waitcnt lgkmcnt(0)
	v_add_co_u32 v6, vcc_lo, s22, v11
	v_add_co_ci_u32_e32 v7, vcc_lo, s23, v12, vcc_lo
	s_mov_b32 s7, 0
	s_delay_alu instid0(VALU_DEP_3)
	v_add_co_u32 v8, vcc_lo, s14, v4
	v_add_co_ci_u32_e32 v9, vcc_lo, s15, v5, vcc_lo
	s_mov_b32 s8, -1
	s_mov_b32 s9, 0x3e76c4e1
	global_store_b32 v[6:7], v29, off
	global_store_b32 v[8:9], v29, off
	global_load_b32 v21, v[167:168], off offset:12
	s_clause 0x2
	global_load_b64 v[17:18], v[8:9], off offset:4
	global_load_b128 v[4:7], v[8:9], off offset:28
	global_load_b32 v22, v[8:9], off offset:60
	s_mov_b32 s12, 0
	s_waitcnt vmcnt(3)
	v_cmp_lt_i32_e32 vcc_lo, v3, v21
	v_max_i32_e32 v21, v3, v21
	s_waitcnt vmcnt(2)
	v_cvt_i32_f32_e32 v17, v17
	s_waitcnt vmcnt(0)
	v_cmp_ne_u32_e64 s2, 0, v22
	v_cmp_gt_i32_e64 s1, 30, v5
	v_dual_cndmask_b32 v9, v16, v168 :: v_dual_cndmask_b32 v8, v15, v167
	v_div_scale_f32 v15, null, v18, v18, v29
	v_mov_b32_e32 v22, 0x230
	global_load_b96 v[8:10], v[8:9], off
	v_rcp_f32_e32 v16, v15
	s_waitcnt_depctr 0xfff
	v_fma_f32 v23, -v15, v16, 1.0
	s_delay_alu instid0(VALU_DEP_1) | instskip(SKIP_1) | instid1(VALU_DEP_1)
	v_fmac_f32_e32 v16, v23, v16
	v_div_scale_f32 v23, vcc_lo, v29, v18, v29
	v_mul_f32_e32 v24, v23, v16
	s_delay_alu instid0(VALU_DEP_1) | instskip(NEXT) | instid1(VALU_DEP_1)
	v_fma_f32 v25, -v15, v24, v23
	v_fmac_f32_e32 v24, v25, v16
	s_delay_alu instid0(VALU_DEP_1) | instskip(SKIP_2) | instid1(VALU_DEP_3)
	v_fma_f32 v15, -v15, v24, v23
	v_sub_nc_u32_e32 v23, 30, v5
	v_not_b32_e32 v5, v4
	v_div_fmas_f32 v15, v15, v16, v24
	s_delay_alu instid0(VALU_DEP_3) | instskip(NEXT) | instid1(VALU_DEP_2)
	v_max_i32_e32 v4, 0, v23
	v_div_fixup_f32 v15, v15, v18, v29
	s_delay_alu instid0(VALU_DEP_1) | instskip(NEXT) | instid1(VALU_DEP_1)
	v_dual_add_f32 v16, 1.0, v15 :: v_dual_mov_b32 v15, 0
	v_cmp_eq_f32_e64 s0, 1.0, v16
	s_branch .LBB0_178
.LBB0_175:                              ;   in Loop: Header=BB0_178 Depth=1
	s_or_b32 exec_lo, exec_lo, s4
.LBB0_176:                              ;   in Loop: Header=BB0_178 Depth=1
	s_delay_alu instid0(SALU_CYCLE_1) | instskip(NEXT) | instid1(VALU_DEP_1)
	s_or_b32 exec_lo, exec_lo, s3
	v_div_scale_f32 v25, null, v24, v24, 1.0
	s_waitcnt_depctr 0xfff
	v_rcp_f32_e32 v26, v25
	s_waitcnt_depctr 0xfff
	v_fma_f32 v27, -v25, v26, 1.0
	s_delay_alu instid0(VALU_DEP_1) | instskip(SKIP_1) | instid1(VALU_DEP_1)
	v_fmac_f32_e32 v26, v27, v26
	v_div_scale_f32 v27, vcc_lo, 1.0, v24, 1.0
	v_mul_f32_e32 v28, v27, v26
	s_delay_alu instid0(VALU_DEP_1) | instskip(NEXT) | instid1(VALU_DEP_1)
	v_fma_f32 v30, -v25, v28, v27
	v_fmac_f32_e32 v28, v30, v26
	s_delay_alu instid0(VALU_DEP_1) | instskip(NEXT) | instid1(VALU_DEP_1)
	v_fma_f32 v25, -v25, v28, v27
	v_div_fmas_f32 v25, v25, v26, v28
	s_delay_alu instid0(VALU_DEP_1) | instskip(NEXT) | instid1(VALU_DEP_1)
	v_div_fixup_f32 v24, v25, v24, 1.0
	v_fmac_f32_e32 v15, v23, v24
.LBB0_177:                              ;   in Loop: Header=BB0_178 Depth=1
	s_or_b32 exec_lo, exec_lo, s13
	s_add_i32 s8, s8, 1
	s_add_i32 s12, s12, 52
	v_cmp_eq_u32_e32 vcc_lo, s8, v173
	s_or_b32 s7, vcc_lo, s7
	s_delay_alu instid0(SALU_CYCLE_1)
	s_and_not1_b32 exec_lo, exec_lo, s7
	s_cbranch_execz .LBB0_196
.LBB0_178:                              ; =>This Inner Loop Header: Depth=1
	v_readfirstlane_b32 s4, v22
	s_mov_b32 s13, exec_lo
	s_delay_alu instid0(VALU_DEP_1) | instskip(NEXT) | instid1(SALU_CYCLE_1)
	s_add_i32 s4, s4, s12
	s_add_i32 s3, s4, 12
	scratch_load_b32 v24, off, s3
	s_waitcnt vmcnt(0)
	v_cmpx_ge_i32_e64 v24, v21
	s_cbranch_execz .LBB0_177
; %bb.179:                              ;   in Loop: Header=BB0_178 Depth=1
	s_add_i32 s3, s4, 48
	s_mov_b32 s5, exec_lo
	scratch_load_b32 v23, off, s3
	s_waitcnt vmcnt(0)
	v_cmpx_eq_f32_e32 -1.0, v23
	s_cbranch_execz .LBB0_181
; %bb.180:                              ;   in Loop: Header=BB0_178 Depth=1
	s_add_i32 s3, s4, 32
	s_add_i32 s6, s4, 16
	s_clause 0x1
	scratch_load_b96 v[25:27], off, s3
	scratch_load_b96 v[30:32], off, s6
	s_waitcnt vmcnt(1)
	v_cmp_eq_u32_e32 vcc_lo, 31, v26
	s_waitcnt vmcnt(0)
	v_cmp_gt_i32_e64 s3, 30, v31
	v_not_b32_e32 v23, v30
	v_sub_nc_u32_e32 v28, 30, v31
	v_sub_nc_u32_e32 v27, v27, v32
	s_delay_alu instid0(VALU_DEP_4)
	s_and_b32 vcc_lo, vcc_lo, s3
	s_delay_alu instid0(VALU_DEP_3) | instid1(SALU_CYCLE_1)
	v_add_co_ci_u32_e64 v25, s3, v25, v23, vcc_lo
	s_delay_alu instid0(VALU_DEP_3) | instskip(SKIP_1) | instid1(VALU_DEP_3)
	v_max_i32_e32 v23, 0, v28
	v_min_i32_e32 v28, 30, v26
	v_mul_lo_u32 v30, v25, 30
	s_delay_alu instid0(VALU_DEP_3) | instskip(NEXT) | instid1(VALU_DEP_3)
	v_mad_u64_u32 v[25:26], null, 0x168, v27, v[23:24]
	v_cndmask_b32_e64 v23, v28, 1, vcc_lo
	s_delay_alu instid0(VALU_DEP_1) | instskip(NEXT) | instid1(VALU_DEP_1)
	v_add3_u32 v23, v25, v23, v30
	v_cvt_f32_i32_e32 v23, v23
	s_delay_alu instid0(VALU_DEP_1) | instskip(NEXT) | instid1(VALU_DEP_1)
	v_div_scale_f32 v25, null, 0x43b40000, 0x43b40000, v23
	v_rcp_f32_e32 v26, v25
	s_waitcnt_depctr 0xfff
	v_fma_f32 v27, -v25, v26, 1.0
	s_delay_alu instid0(VALU_DEP_1) | instskip(SKIP_1) | instid1(VALU_DEP_1)
	v_fmac_f32_e32 v26, v27, v26
	v_div_scale_f32 v27, vcc_lo, v23, 0x43b40000, v23
	v_mul_f32_e32 v28, v27, v26
	s_delay_alu instid0(VALU_DEP_1) | instskip(NEXT) | instid1(VALU_DEP_1)
	v_fma_f32 v30, -v25, v28, v27
	v_fmac_f32_e32 v28, v30, v26
	s_delay_alu instid0(VALU_DEP_1) | instskip(NEXT) | instid1(VALU_DEP_1)
	v_fma_f32 v25, -v25, v28, v27
	v_div_fmas_f32 v25, v25, v26, v28
	s_delay_alu instid0(VALU_DEP_1) | instskip(NEXT) | instid1(VALU_DEP_1)
	v_div_fixup_f32 v23, v25, 0x43b40000, v23
	v_fma_f32 v23, v160, v23, 1.0
	s_delay_alu instid0(VALU_DEP_1) | instskip(NEXT) | instid1(VALU_DEP_1)
	v_add_f32_e32 v23, -1.0, v23
	v_mul_f32_e32 v23, 0x42c80000, v23
.LBB0_181:                              ;   in Loop: Header=BB0_178 Depth=1
	s_or_b32 exec_lo, exec_lo, s5
                                        ; implicit-def: $vgpr25
	s_and_saveexec_b32 s3, s2
	s_delay_alu instid0(SALU_CYCLE_1)
	s_xor_b32 s3, exec_lo, s3
	s_cbranch_execz .LBB0_183
; %bb.182:                              ;   in Loop: Header=BB0_178 Depth=1
	v_sub_nc_u32_e32 v25, v24, v7
	s_and_not1_saveexec_b32 s3, s3
	s_cbranch_execnz .LBB0_184
	s_branch .LBB0_185
.LBB0_183:                              ;   in Loop: Header=BB0_178 Depth=1
	s_and_not1_saveexec_b32 s3, s3
	s_cbranch_execz .LBB0_185
.LBB0_184:                              ;   in Loop: Header=BB0_178 Depth=1
	scratch_load_b96 v[24:26], off, s4
	s_waitcnt vmcnt(0)
	v_cmp_eq_u32_e32 vcc_lo, 31, v25
	v_sub_nc_u32_e32 v26, v26, v6
	s_and_b32 s4, vcc_lo, s1
	s_delay_alu instid0(SALU_CYCLE_1) | instskip(NEXT) | instid1(VALU_DEP_1)
	v_cndmask_b32_e64 v27, 0, 1, s4
	v_add3_u32 v24, v24, v5, v27
	v_min_i32_e32 v27, 30, v25
	s_delay_alu instid0(VALU_DEP_2) | instskip(SKIP_1) | instid1(VALU_DEP_3)
	v_mul_lo_u32 v28, v24, 30
	v_mad_u64_u32 v[24:25], null, 0x168, v26, v[4:5]
	v_cndmask_b32_e64 v25, v27, 1, s4
	s_delay_alu instid0(VALU_DEP_1)
	v_add3_u32 v25, v24, v25, v28
.LBB0_185:                              ;   in Loop: Header=BB0_178 Depth=1
	s_or_b32 exec_lo, exec_lo, s3
	s_delay_alu instid0(VALU_DEP_1) | instskip(SKIP_1) | instid1(VALU_DEP_1)
	v_cvt_f32_i32_e32 v24, v25
	s_mov_b32 s3, exec_lo
	v_div_scale_f32 v25, null, 0x43b40000, 0x43b40000, v24
	v_div_scale_f32 v28, vcc_lo, v24, 0x43b40000, v24
	s_delay_alu instid0(VALU_DEP_2) | instskip(SKIP_2) | instid1(VALU_DEP_1)
	v_rcp_f32_e32 v26, v25
	s_waitcnt_depctr 0xfff
	v_fma_f32 v27, -v25, v26, 1.0
	v_fmac_f32_e32 v26, v27, v26
	s_delay_alu instid0(VALU_DEP_1) | instskip(NEXT) | instid1(VALU_DEP_1)
	v_mul_f32_e32 v27, v28, v26
	v_fma_f32 v30, -v25, v27, v28
	s_delay_alu instid0(VALU_DEP_1) | instskip(NEXT) | instid1(VALU_DEP_1)
	v_fmac_f32_e32 v27, v30, v26
	v_fma_f32 v25, -v25, v27, v28
	s_delay_alu instid0(VALU_DEP_1) | instskip(NEXT) | instid1(VALU_DEP_1)
	v_div_fmas_f32 v25, v25, v26, v27
	v_div_fixup_f32 v25, v25, 0x43b40000, v24
                                        ; implicit-def: $vgpr24
	v_cmpx_lt_i32_e32 0, v17
	s_xor_b32 s14, exec_lo, s3
	s_cbranch_execz .LBB0_193
; %bb.186:                              ;   in Loop: Header=BB0_178 Depth=1
	s_mov_b32 s3, exec_lo
                                        ; implicit-def: $vgpr24
	v_cmpx_lt_i32_e32 1, v17
	s_xor_b32 s3, exec_lo, s3
	s_cbranch_execz .LBB0_190
; %bb.187:                              ;   in Loop: Header=BB0_178 Depth=1
	v_mov_b32_e32 v24, 0
	s_mov_b32 s4, exec_lo
	v_cmpx_eq_u32_e32 2, v17
	s_cbranch_execz .LBB0_189
; %bb.188:                              ;   in Loop: Header=BB0_178 Depth=1
	v_mul_f32_e32 v24, v29, v25
	s_delay_alu instid0(VALU_DEP_1) | instskip(SKIP_1) | instid1(VALU_DEP_2)
	v_mul_f32_e32 v25, 0x3fb8aa3b, v24
	v_cmp_ngt_f32_e32 vcc_lo, 0xc2ce8ed0, v24
	v_fma_f32 v26, 0x3fb8aa3b, v24, -v25
	v_rndne_f32_e32 v27, v25
	s_delay_alu instid0(VALU_DEP_1) | instskip(NEXT) | instid1(VALU_DEP_1)
	v_dual_fmac_f32 v26, 0x32a5705f, v24 :: v_dual_sub_f32 v25, v25, v27
	v_add_f32_e32 v25, v25, v26
	v_cvt_i32_f32_e32 v26, v27
	s_delay_alu instid0(VALU_DEP_2) | instskip(SKIP_2) | instid1(VALU_DEP_1)
	v_exp_f32_e32 v25, v25
	s_waitcnt_depctr 0xfff
	v_ldexp_f32 v25, v25, v26
	v_cndmask_b32_e32 v25, 0, v25, vcc_lo
	v_cmp_nlt_f32_e32 vcc_lo, 0x42b17218, v24
	s_delay_alu instid0(VALU_DEP_2)
	v_cndmask_b32_e32 v24, 0x7f800000, v25, vcc_lo
.LBB0_189:                              ;   in Loop: Header=BB0_178 Depth=1
	s_or_b32 exec_lo, exec_lo, s4
                                        ; implicit-def: $vgpr25
.LBB0_190:                              ;   in Loop: Header=BB0_178 Depth=1
	s_and_not1_saveexec_b32 s15, s3
	s_cbranch_execz .LBB0_192
; %bb.191:                              ;   in Loop: Header=BB0_178 Depth=1
	v_mul_f32_e32 v26, v18, v25
	s_delay_alu instid0(VALU_DEP_1) | instskip(NEXT) | instid1(VALU_DEP_1)
	v_cndmask_b32_e64 v27, v26, 1.0, s0
	v_cmp_eq_f32_e32 vcc_lo, 0, v27
	v_cmp_gt_f32_e64 s6, 0, v27
	v_cndmask_b32_e64 v28, |v16|, 1.0, vcc_lo
	s_delay_alu instid0(VALU_DEP_1) | instskip(NEXT) | instid1(VALU_DEP_1)
	v_frexp_mant_f32_e32 v24, v28
	v_cmp_gt_f32_e64 s3, 0x3f2aaaab, v24
	s_delay_alu instid0(VALU_DEP_1) | instskip(NEXT) | instid1(VALU_DEP_1)
	v_cndmask_b32_e64 v25, 1.0, 2.0, s3
	v_mul_f32_e32 v24, v24, v25
	s_delay_alu instid0(VALU_DEP_1) | instskip(NEXT) | instid1(VALU_DEP_1)
	v_add_f32_e32 v25, 1.0, v24
	v_rcp_f32_e32 v30, v25
	v_add_f32_e32 v33, -1.0, v25
	s_delay_alu instid0(VALU_DEP_1) | instskip(SKIP_2) | instid1(VALU_DEP_1)
	v_dual_add_f32 v31, -1.0, v24 :: v_dual_sub_f32 v24, v24, v33
	s_waitcnt_depctr 0xfff
	v_mul_f32_e32 v32, v31, v30
	v_mul_f32_e32 v34, v25, v32
	s_delay_alu instid0(VALU_DEP_1) | instskip(NEXT) | instid1(VALU_DEP_1)
	v_fma_f32 v25, v32, v25, -v34
	v_fmac_f32_e32 v25, v32, v24
	s_delay_alu instid0(VALU_DEP_1) | instskip(NEXT) | instid1(VALU_DEP_1)
	v_add_f32_e32 v24, v34, v25
	v_dual_sub_f32 v33, v31, v24 :: v_dual_sub_f32 v34, v24, v34
	s_delay_alu instid0(VALU_DEP_1) | instskip(NEXT) | instid1(VALU_DEP_2)
	v_sub_f32_e32 v25, v34, v25
	v_sub_f32_e32 v31, v31, v33
	s_delay_alu instid0(VALU_DEP_1) | instskip(NEXT) | instid1(VALU_DEP_1)
	v_sub_f32_e32 v24, v31, v24
	v_add_f32_e32 v24, v25, v24
	s_delay_alu instid0(VALU_DEP_1) | instskip(NEXT) | instid1(VALU_DEP_1)
	v_add_f32_e32 v24, v33, v24
	v_mul_f32_e32 v24, v30, v24
	s_delay_alu instid0(VALU_DEP_1) | instskip(NEXT) | instid1(VALU_DEP_1)
	v_add_f32_e32 v30, v32, v24
	v_sub_f32_e32 v25, v30, v32
	v_mul_f32_e32 v31, v30, v30
	s_delay_alu instid0(VALU_DEP_1) | instskip(NEXT) | instid1(VALU_DEP_3)
	v_fma_f32 v33, v30, v30, -v31
	v_sub_f32_e32 v32, v24, v25
	s_delay_alu instid0(VALU_DEP_1) | instskip(NEXT) | instid1(VALU_DEP_1)
	v_add_f32_e32 v24, v32, v32
	v_fmac_f32_e32 v33, v30, v24
	v_cvt_f64_f32_e32 v[24:25], v28
	s_delay_alu instid0(VALU_DEP_2) | instskip(NEXT) | instid1(VALU_DEP_1)
	v_add_f32_e32 v34, v31, v33
	v_fmaak_f32 v35, s9, v34, 0x3e91f4c4
	v_sub_f32_e32 v31, v34, v31
	v_mul_f32_e32 v38, v30, v34
	s_delay_alu instid0(VALU_DEP_3) | instskip(NEXT) | instid1(VALU_DEP_3)
	v_fmaak_f32 v35, v34, v35, 0x3ecccdef
	v_sub_f32_e32 v31, v33, v31
	s_delay_alu instid0(VALU_DEP_2) | instskip(NEXT) | instid1(VALU_DEP_1)
	v_mul_f32_e32 v36, v34, v35
	v_fma_f32 v33, v34, v35, -v36
	s_delay_alu instid0(VALU_DEP_1) | instskip(NEXT) | instid1(VALU_DEP_1)
	v_fmac_f32_e32 v33, v31, v35
	v_add_f32_e32 v35, v36, v33
	v_frexp_exp_i32_f64_e32 v24, v[24:25]
	s_delay_alu instid0(VALU_DEP_2) | instskip(NEXT) | instid1(VALU_DEP_1)
	v_dual_sub_f32 v36, v35, v36 :: v_dual_add_f32 v37, 0x3f2aaaaa, v35
	v_sub_f32_e32 v25, v33, v36
	s_delay_alu instid0(VALU_DEP_2) | instskip(SKIP_1) | instid1(VALU_DEP_1)
	v_add_f32_e32 v33, 0xbf2aaaaa, v37
	v_fma_f32 v36, v34, v30, -v38
	v_dual_sub_f32 v33, v35, v33 :: v_dual_fmac_f32 v36, v34, v32
	v_ldexp_f32 v32, v32, 1
	s_delay_alu instid0(VALU_DEP_2) | instskip(NEXT) | instid1(VALU_DEP_1)
	v_dual_fmac_f32 v36, v31, v30 :: v_dual_add_f32 v25, 0x31739010, v25
	v_add_f32_e32 v25, v25, v33
	s_delay_alu instid0(VALU_DEP_2) | instskip(NEXT) | instid1(VALU_DEP_2)
	v_add_f32_e32 v33, v38, v36
	v_add_f32_e32 v31, v37, v25
	s_delay_alu instid0(VALU_DEP_1) | instskip(SKIP_1) | instid1(VALU_DEP_2)
	v_sub_f32_e32 v34, v37, v31
	v_subrev_co_ci_u32_e64 v24, s3, 0, v24, s3
	v_add_f32_e32 v25, v25, v34
	s_delay_alu instid0(VALU_DEP_2) | instskip(SKIP_1) | instid1(VALU_DEP_1)
	v_cvt_f32_i32_e32 v24, v24
	v_sub_f32_e32 v37, v33, v38
	v_dual_sub_f32 v36, v36, v37 :: v_dual_mul_f32 v35, v33, v31
	s_delay_alu instid0(VALU_DEP_1) | instskip(NEXT) | instid1(VALU_DEP_1)
	v_fma_f32 v34, v33, v31, -v35
	v_fmac_f32_e32 v34, v33, v25
	v_ldexp_f32 v25, v30, 1
	s_delay_alu instid0(VALU_DEP_2) | instskip(NEXT) | instid1(VALU_DEP_1)
	v_fmac_f32_e32 v34, v36, v31
	v_add_f32_e32 v30, v35, v34
	s_delay_alu instid0(VALU_DEP_1) | instskip(SKIP_2) | instid1(VALU_DEP_3)
	v_sub_f32_e32 v33, v30, v35
	v_mul_f32_e32 v35, 0x3f317218, v24
	v_add_f32_e32 v31, v25, v30
	v_sub_f32_e32 v33, v34, v33
	s_delay_alu instid0(VALU_DEP_3) | instskip(NEXT) | instid1(VALU_DEP_1)
	v_fma_f32 v34, 0x3f317218, v24, -v35
	v_dual_fmac_f32 v34, 0xb102e308, v24 :: v_dual_sub_f32 v25, v31, v25
	s_delay_alu instid0(VALU_DEP_1) | instskip(NEXT) | instid1(VALU_DEP_4)
	v_sub_f32_e32 v25, v30, v25
	v_add_f32_e32 v30, v32, v33
	s_delay_alu instid0(VALU_DEP_1) | instskip(NEXT) | instid1(VALU_DEP_1)
	v_dual_add_f32 v24, v30, v25 :: v_dual_add_f32 v25, v35, v34
	v_add_f32_e32 v30, v31, v24
	s_delay_alu instid0(VALU_DEP_1) | instskip(NEXT) | instid1(VALU_DEP_1)
	v_dual_add_f32 v32, v25, v30 :: v_dual_sub_f32 v31, v30, v31
	v_sub_f32_e32 v33, v32, v25
	s_delay_alu instid0(VALU_DEP_2) | instskip(NEXT) | instid1(VALU_DEP_2)
	v_sub_f32_e32 v24, v24, v31
	v_dual_sub_f32 v36, v32, v33 :: v_dual_sub_f32 v35, v25, v35
	s_delay_alu instid0(VALU_DEP_1) | instskip(NEXT) | instid1(VALU_DEP_2)
	v_dual_sub_f32 v30, v30, v33 :: v_dual_sub_f32 v25, v25, v36
	v_sub_f32_e32 v34, v34, v35
	s_delay_alu instid0(VALU_DEP_2) | instskip(NEXT) | instid1(VALU_DEP_2)
	v_add_f32_e32 v25, v30, v25
	v_add_f32_e32 v31, v34, v24
	s_delay_alu instid0(VALU_DEP_1) | instskip(NEXT) | instid1(VALU_DEP_1)
	v_sub_f32_e32 v30, v31, v34
	v_dual_add_f32 v25, v31, v25 :: v_dual_sub_f32 v24, v24, v30
	s_delay_alu instid0(VALU_DEP_1) | instskip(SKIP_1) | instid1(VALU_DEP_1)
	v_add_f32_e32 v33, v32, v25
	v_sub_f32_e32 v31, v31, v30
	v_dual_sub_f32 v30, v34, v31 :: v_dual_sub_f32 v31, v33, v32
	s_delay_alu instid0(VALU_DEP_1) | instskip(NEXT) | instid1(VALU_DEP_1)
	v_dual_add_f32 v24, v24, v30 :: v_dual_sub_f32 v25, v25, v31
	v_add_f32_e32 v24, v24, v25
	s_delay_alu instid0(VALU_DEP_1) | instskip(NEXT) | instid1(VALU_DEP_1)
	v_add_f32_e32 v25, v33, v24
	v_sub_f32_e32 v30, v25, v33
	s_delay_alu instid0(VALU_DEP_1) | instskip(NEXT) | instid1(VALU_DEP_1)
	v_dual_mul_f32 v31, v27, v25 :: v_dual_sub_f32 v24, v24, v30
	v_fma_f32 v25, v27, v25, -v31
	v_cmp_class_f32_e64 s3, v31, 0x204
	s_delay_alu instid0(VALU_DEP_2) | instskip(NEXT) | instid1(VALU_DEP_1)
	v_fmac_f32_e32 v25, v27, v24
	v_add_f32_e32 v24, v31, v25
	s_delay_alu instid0(VALU_DEP_1) | instskip(NEXT) | instid1(VALU_DEP_1)
	v_cndmask_b32_e64 v30, v24, v31, s3
	v_cmp_eq_f32_e64 s3, 0x42b17218, v30
	s_delay_alu instid0(VALU_DEP_1) | instskip(SKIP_1) | instid1(VALU_DEP_2)
	v_cndmask_b32_e64 v32, 0, 0x37000000, s3
	v_cmp_neq_f32_e64 s3, 0x7f800000, |v30|
	v_dual_sub_f32 v33, v30, v32 :: v_dual_sub_f32 v24, v24, v31
	v_trunc_f32_e32 v30, v27
	s_delay_alu instid0(VALU_DEP_2) | instskip(NEXT) | instid1(VALU_DEP_3)
	v_mul_f32_e32 v34, 0x3fb8aa3b, v33
	v_sub_f32_e32 v24, v25, v24
	v_cndmask_b32_e64 v25, |v26|, 1.0, s0
	s_delay_alu instid0(VALU_DEP_3) | instskip(SKIP_1) | instid1(VALU_DEP_4)
	v_fma_f32 v35, 0x3fb8aa3b, v33, -v34
	v_rndne_f32_e32 v36, v34
	v_cndmask_b32_e64 v24, 0, v24, s3
	v_cmp_ngt_f32_e64 s3, 0xc2ce8ed0, v33
	s_delay_alu instid0(VALU_DEP_3) | instskip(SKIP_1) | instid1(VALU_DEP_4)
	v_dual_fmac_f32 v35, 0x32a5705f, v33 :: v_dual_sub_f32 v34, v34, v36
	v_cvt_i32_f32_e32 v31, v36
	v_add_f32_e32 v24, v32, v24
	s_delay_alu instid0(VALU_DEP_3) | instskip(NEXT) | instid1(VALU_DEP_1)
	v_add_f32_e32 v34, v34, v35
	v_exp_f32_e32 v34, v34
	s_waitcnt_depctr 0xfff
	v_ldexp_f32 v26, v34, v31
	v_mul_f32_e32 v31, 0.5, v27
	s_delay_alu instid0(VALU_DEP_2) | instskip(SKIP_1) | instid1(VALU_DEP_3)
	v_cndmask_b32_e64 v26, 0, v26, s3
	v_cmp_nlt_f32_e64 s3, 0x42b17218, v33
	v_trunc_f32_e32 v34, v31
	s_delay_alu instid0(VALU_DEP_2) | instskip(SKIP_1) | instid1(VALU_DEP_3)
	v_cndmask_b32_e64 v26, 0x7f800000, v26, s3
	v_cmp_eq_f32_e64 s3, v30, v27
	v_cmp_neq_f32_e64 s4, v34, v31
	v_cndmask_b32_e64 v30, v16, 1.0, vcc_lo
	v_cmp_neq_f32_e32 vcc_lo, v27, v25
	v_fma_f32 v24, v26, v24, v26
	v_cmp_class_f32_e64 s5, v26, 0x204
	s_and_b32 s4, s3, s4
	s_delay_alu instid0(SALU_CYCLE_1) | instskip(NEXT) | instid1(VALU_DEP_2)
	v_cndmask_b32_e64 v31, 1.0, v30, s4
	v_cndmask_b32_e64 v24, v24, v26, s5
	v_cmp_gt_f32_e64 s5, 1.0, v28
	s_delay_alu instid0(VALU_DEP_2) | instskip(NEXT) | instid1(VALU_DEP_2)
	v_bfi_b32 v24, 0x7fffffff, v24, v31
	s_xor_b32 s5, vcc_lo, s5
	v_cmp_eq_f32_e32 vcc_lo, 0, v30
	v_cndmask_b32_e64 v26, v25, 0, s5
	s_delay_alu instid0(VALU_DEP_3) | instskip(SKIP_1) | instid1(VALU_DEP_1)
	v_cndmask_b32_e64 v31, 0x7fc00000, v24, s3
	v_cmp_eq_f32_e64 s3, 1.0, v28
	v_cndmask_b32_e64 v26, v26, v28, s3
	s_xor_b32 s3, s6, vcc_lo
	s_delay_alu instid0(SALU_CYCLE_1) | instskip(SKIP_1) | instid1(VALU_DEP_1)
	v_cndmask_b32_e64 v32, 0x7f800000, 0, s3
	v_cmp_gt_f32_e64 s3, 0, v30
	v_cndmask_b32_e64 v24, v24, v31, s3
	v_cndmask_b32_e64 v31, 0, v30, s4
	v_cmp_eq_f32_e64 s4, 0x7f800000, v25
	v_cmp_eq_f32_e64 s3, 0x7f800000, v28
	s_delay_alu instid0(VALU_DEP_3) | instskip(NEXT) | instid1(VALU_DEP_3)
	v_bfi_b32 v25, 0x7fffffff, v32, v31
	v_cndmask_b32_e64 v24, v24, v26, s4
	s_delay_alu instid0(VALU_DEP_3) | instskip(NEXT) | instid1(VALU_DEP_1)
	s_or_b32 vcc_lo, s3, vcc_lo
	v_cndmask_b32_e32 v24, v24, v25, vcc_lo
	v_cmp_o_f32_e32 vcc_lo, v30, v27
	s_delay_alu instid0(VALU_DEP_2)
	v_cndmask_b32_e32 v24, 0x7fc00000, v24, vcc_lo
.LBB0_192:                              ;   in Loop: Header=BB0_178 Depth=1
	s_or_b32 exec_lo, exec_lo, s15
                                        ; implicit-def: $vgpr25
.LBB0_193:                              ;   in Loop: Header=BB0_178 Depth=1
	s_and_not1_saveexec_b32 s3, s14
	s_cbranch_execz .LBB0_176
; %bb.194:                              ;   in Loop: Header=BB0_178 Depth=1
	v_mov_b32_e32 v24, 0
	s_mov_b32 s4, exec_lo
	v_cmpx_eq_u32_e32 0, v17
	s_cbranch_execz .LBB0_175
; %bb.195:                              ;   in Loop: Header=BB0_178 Depth=1
	v_fma_f32 v24, v29, v25, 1.0
	s_branch .LBB0_175
.LBB0_196:
	s_or_b32 exec_lo, exec_lo, s7
                                        ; implicit-def: $vgpr22
	s_and_saveexec_b32 s3, s2
	s_delay_alu instid0(SALU_CYCLE_1)
	s_xor_b32 s2, exec_lo, s3
; %bb.197:
	v_sub_nc_u32_e32 v22, v21, v7
                                        ; implicit-def: $vgpr4_vgpr5_vgpr6_vgpr7
                                        ; implicit-def: $vgpr8_vgpr9_vgpr10
                                        ; implicit-def: $vgpr5
                                        ; implicit-def: $vgpr4
; %bb.198:
	s_and_not1_saveexec_b32 s2, s2
; %bb.199:
	v_cmp_eq_u32_e32 vcc_lo, 31, v9
	s_and_b32 s1, vcc_lo, s1
	s_delay_alu instid0(SALU_CYCLE_1) | instskip(NEXT) | instid1(VALU_DEP_1)
	v_cndmask_b32_e64 v7, 0, 1, s1
	v_add3_u32 v5, v8, v5, v7
	v_sub_nc_u32_e32 v7, v10, v6
	v_min_i32_e32 v8, 30, v9
	s_delay_alu instid0(VALU_DEP_3) | instskip(NEXT) | instid1(VALU_DEP_3)
	v_mul_lo_u32 v9, v5, 30
	v_mad_u64_u32 v[5:6], null, 0x168, v7, v[4:5]
	s_delay_alu instid0(VALU_DEP_3) | instskip(NEXT) | instid1(VALU_DEP_1)
	v_cndmask_b32_e64 v4, v8, 1, s1
	v_add3_u32 v22, v5, v4, v9
; %bb.200:
	s_or_b32 exec_lo, exec_lo, s2
	s_delay_alu instid0(VALU_DEP_1) | instskip(SKIP_1) | instid1(VALU_DEP_1)
	v_cvt_f32_i32_e32 v4, v22
	s_mov_b32 s1, exec_lo
	v_div_scale_f32 v5, null, 0x43b40000, 0x43b40000, v4
	v_div_scale_f32 v8, vcc_lo, v4, 0x43b40000, v4
	s_delay_alu instid0(VALU_DEP_2) | instskip(SKIP_2) | instid1(VALU_DEP_1)
	v_rcp_f32_e32 v6, v5
	s_waitcnt_depctr 0xfff
	v_fma_f32 v7, -v5, v6, 1.0
	v_fmac_f32_e32 v6, v7, v6
	s_delay_alu instid0(VALU_DEP_1) | instskip(NEXT) | instid1(VALU_DEP_1)
	v_mul_f32_e32 v7, v8, v6
	v_fma_f32 v9, -v5, v7, v8
	s_delay_alu instid0(VALU_DEP_1) | instskip(NEXT) | instid1(VALU_DEP_1)
	v_fmac_f32_e32 v7, v9, v6
	v_fma_f32 v5, -v5, v7, v8
	s_delay_alu instid0(VALU_DEP_1) | instskip(NEXT) | instid1(VALU_DEP_1)
	v_div_fmas_f32 v5, v5, v6, v7
	v_div_fixup_f32 v5, v5, 0x43b40000, v4
                                        ; implicit-def: $vgpr4
	v_cmpx_lt_i32_e32 0, v17
	s_xor_b32 s4, exec_lo, s1
	s_cbranch_execz .LBB0_208
; %bb.201:
	s_mov_b32 s1, exec_lo
                                        ; implicit-def: $vgpr4
	v_cmpx_lt_i32_e32 1, v17
	s_xor_b32 s1, exec_lo, s1
	s_cbranch_execz .LBB0_205
; %bb.202:
	v_mov_b32_e32 v4, 0
	s_mov_b32 s2, exec_lo
	v_cmpx_eq_u32_e32 2, v17
	s_cbranch_execz .LBB0_204
; %bb.203:
	v_mul_f32_e32 v4, v29, v5
	s_delay_alu instid0(VALU_DEP_1) | instskip(SKIP_1) | instid1(VALU_DEP_2)
	v_mul_f32_e32 v5, 0x3fb8aa3b, v4
	v_cmp_ngt_f32_e32 vcc_lo, 0xc2ce8ed0, v4
	v_fma_f32 v6, 0x3fb8aa3b, v4, -v5
	v_rndne_f32_e32 v7, v5
	s_delay_alu instid0(VALU_DEP_1) | instskip(NEXT) | instid1(VALU_DEP_1)
	v_dual_fmamk_f32 v6, v4, 0x32a5705f, v6 :: v_dual_sub_f32 v5, v5, v7
	v_add_f32_e32 v5, v5, v6
	v_cvt_i32_f32_e32 v6, v7
	s_delay_alu instid0(VALU_DEP_2) | instskip(SKIP_2) | instid1(VALU_DEP_1)
	v_exp_f32_e32 v5, v5
	s_waitcnt_depctr 0xfff
	v_ldexp_f32 v5, v5, v6
	v_cndmask_b32_e32 v5, 0, v5, vcc_lo
	v_cmp_nlt_f32_e32 vcc_lo, 0x42b17218, v4
	s_delay_alu instid0(VALU_DEP_2)
	v_cndmask_b32_e32 v4, 0x7f800000, v5, vcc_lo
.LBB0_204:
	s_or_b32 exec_lo, exec_lo, s2
                                        ; implicit-def: $vgpr17_vgpr18
                                        ; implicit-def: $vgpr5
                                        ; implicit-def: $vgpr16
.LBB0_205:
	s_and_not1_saveexec_b32 s5, s1
	s_cbranch_execz .LBB0_207
; %bb.206:
	v_mul_f32_e32 v6, v18, v5
	s_mov_b32 s2, 0x3e76c4e1
	s_delay_alu instid0(VALU_DEP_1) | instskip(NEXT) | instid1(VALU_DEP_1)
	v_cndmask_b32_e64 v7, v6, 1.0, s0
	v_cmp_eq_f32_e32 vcc_lo, 0, v7
	v_cmp_gt_f32_e64 s3, 0, v7
	v_cndmask_b32_e64 v8, |v16|, 1.0, vcc_lo
	s_delay_alu instid0(VALU_DEP_1) | instskip(NEXT) | instid1(VALU_DEP_1)
	v_frexp_mant_f32_e32 v4, v8
	v_cmp_gt_f32_e64 s1, 0x3f2aaaab, v4
	s_delay_alu instid0(VALU_DEP_1) | instskip(NEXT) | instid1(VALU_DEP_1)
	v_cndmask_b32_e64 v5, 1.0, 2.0, s1
	v_mul_f32_e32 v4, v4, v5
	s_delay_alu instid0(VALU_DEP_1) | instskip(SKIP_1) | instid1(VALU_DEP_2)
	v_add_f32_e32 v5, 1.0, v4
	v_add_f32_e32 v10, -1.0, v4
	v_rcp_f32_e32 v9, v5
	v_add_f32_e32 v18, -1.0, v5
	s_waitcnt_depctr 0xfff
	v_dual_sub_f32 v4, v4, v18 :: v_dual_mul_f32 v17, v10, v9
	s_delay_alu instid0(VALU_DEP_1) | instskip(NEXT) | instid1(VALU_DEP_1)
	v_mul_f32_e32 v21, v5, v17
	v_fma_f32 v5, v17, v5, -v21
	s_delay_alu instid0(VALU_DEP_1) | instskip(NEXT) | instid1(VALU_DEP_1)
	v_fmac_f32_e32 v5, v17, v4
	v_add_f32_e32 v4, v21, v5
	s_delay_alu instid0(VALU_DEP_1) | instskip(NEXT) | instid1(VALU_DEP_1)
	v_dual_sub_f32 v18, v10, v4 :: v_dual_sub_f32 v21, v4, v21
	v_dual_sub_f32 v10, v10, v18 :: v_dual_sub_f32 v5, v21, v5
	s_delay_alu instid0(VALU_DEP_1) | instskip(NEXT) | instid1(VALU_DEP_1)
	v_sub_f32_e32 v4, v10, v4
	v_add_f32_e32 v4, v5, v4
	s_delay_alu instid0(VALU_DEP_1) | instskip(NEXT) | instid1(VALU_DEP_1)
	v_add_f32_e32 v4, v18, v4
	v_mul_f32_e32 v4, v9, v4
	s_delay_alu instid0(VALU_DEP_1) | instskip(NEXT) | instid1(VALU_DEP_1)
	v_add_f32_e32 v9, v17, v4
	v_sub_f32_e32 v5, v9, v17
	v_mul_f32_e32 v10, v9, v9
	s_delay_alu instid0(VALU_DEP_1) | instskip(NEXT) | instid1(VALU_DEP_3)
	v_fma_f32 v18, v9, v9, -v10
	v_sub_f32_e32 v17, v4, v5
	s_delay_alu instid0(VALU_DEP_1) | instskip(NEXT) | instid1(VALU_DEP_1)
	v_add_f32_e32 v4, v17, v17
	v_fmac_f32_e32 v18, v9, v4
	v_cvt_f64_f32_e32 v[4:5], v8
	s_delay_alu instid0(VALU_DEP_2) | instskip(NEXT) | instid1(VALU_DEP_1)
	v_add_f32_e32 v21, v10, v18
	v_fmaak_f32 v22, s2, v21, 0x3e91f4c4
	v_sub_f32_e32 v10, v21, v10
	s_delay_alu instid0(VALU_DEP_1) | instskip(NEXT) | instid1(VALU_DEP_3)
	v_dual_mul_f32 v25, v9, v21 :: v_dual_sub_f32 v10, v18, v10
	v_fmaak_f32 v22, v21, v22, 0x3ecccdef
	s_delay_alu instid0(VALU_DEP_1) | instskip(NEXT) | instid1(VALU_DEP_1)
	v_mul_f32_e32 v23, v21, v22
	v_fma_f32 v18, v21, v22, -v23
	s_delay_alu instid0(VALU_DEP_1) | instskip(NEXT) | instid1(VALU_DEP_1)
	v_fmac_f32_e32 v18, v10, v22
	v_add_f32_e32 v22, v23, v18
	v_frexp_exp_i32_f64_e32 v4, v[4:5]
	s_delay_alu instid0(VALU_DEP_2) | instskip(NEXT) | instid1(VALU_DEP_1)
	v_dual_sub_f32 v23, v22, v23 :: v_dual_add_f32 v24, 0x3f2aaaaa, v22
	v_dual_sub_f32 v5, v18, v23 :: v_dual_add_f32 v18, 0xbf2aaaaa, v24
	v_fma_f32 v23, v21, v9, -v25
	s_delay_alu instid0(VALU_DEP_2) | instskip(NEXT) | instid1(VALU_DEP_2)
	v_dual_add_f32 v5, 0x31739010, v5 :: v_dual_sub_f32 v18, v22, v18
	v_fmac_f32_e32 v23, v21, v17
	v_ldexp_f32 v17, v17, 1
	s_delay_alu instid0(VALU_DEP_3) | instskip(NEXT) | instid1(VALU_DEP_3)
	v_add_f32_e32 v5, v5, v18
	v_fmac_f32_e32 v23, v10, v9
	s_delay_alu instid0(VALU_DEP_2) | instskip(NEXT) | instid1(VALU_DEP_1)
	v_add_f32_e32 v10, v24, v5
	v_dual_add_f32 v18, v25, v23 :: v_dual_sub_f32 v21, v24, v10
	s_delay_alu instid0(VALU_DEP_1) | instskip(SKIP_1) | instid1(VALU_DEP_3)
	v_mul_f32_e32 v22, v18, v10
	v_sub_f32_e32 v24, v18, v25
	v_add_f32_e32 v5, v5, v21
	s_delay_alu instid0(VALU_DEP_3) | instskip(NEXT) | instid1(VALU_DEP_3)
	v_fma_f32 v21, v18, v10, -v22
	v_sub_f32_e32 v23, v23, v24
	v_subrev_co_ci_u32_e64 v4, s1, 0, v4, s1
	s_delay_alu instid0(VALU_DEP_3) | instskip(SKIP_1) | instid1(VALU_DEP_3)
	v_fmac_f32_e32 v21, v18, v5
	v_ldexp_f32 v5, v9, 1
	v_cvt_f32_i32_e32 v4, v4
	s_delay_alu instid0(VALU_DEP_3) | instskip(NEXT) | instid1(VALU_DEP_1)
	v_fmac_f32_e32 v21, v23, v10
	v_add_f32_e32 v9, v22, v21
	s_delay_alu instid0(VALU_DEP_1) | instskip(NEXT) | instid1(VALU_DEP_4)
	v_sub_f32_e32 v18, v9, v22
	v_mul_f32_e32 v22, 0x3f317218, v4
	s_delay_alu instid0(VALU_DEP_2) | instskip(NEXT) | instid1(VALU_DEP_2)
	v_sub_f32_e32 v18, v21, v18
	v_fma_f32 v21, 0x3f317218, v4, -v22
	s_delay_alu instid0(VALU_DEP_1) | instskip(SKIP_1) | instid1(VALU_DEP_1)
	v_fmamk_f32 v4, v4, 0xb102e308, v21
	v_add_f32_e32 v10, v5, v9
	v_sub_f32_e32 v5, v10, v5
	s_delay_alu instid0(VALU_DEP_1) | instskip(SKIP_1) | instid1(VALU_DEP_1)
	v_sub_f32_e32 v5, v9, v5
	v_add_f32_e32 v9, v17, v18
	v_add_f32_e32 v5, v9, v5
	;; [unrolled: 1-line block ×3, first 2 shown]
	s_delay_alu instid0(VALU_DEP_2) | instskip(NEXT) | instid1(VALU_DEP_1)
	v_add_f32_e32 v17, v10, v5
	v_add_f32_e32 v18, v9, v17
	s_delay_alu instid0(VALU_DEP_1) | instskip(NEXT) | instid1(VALU_DEP_1)
	v_dual_sub_f32 v10, v17, v10 :: v_dual_sub_f32 v21, v18, v9
	v_sub_f32_e32 v5, v5, v10
	s_delay_alu instid0(VALU_DEP_2) | instskip(SKIP_2) | instid1(VALU_DEP_3)
	v_sub_f32_e32 v23, v18, v21
	v_sub_f32_e32 v10, v17, v21
	;; [unrolled: 1-line block ×4, first 2 shown]
	s_delay_alu instid0(VALU_DEP_1) | instskip(NEXT) | instid1(VALU_DEP_1)
	v_dual_add_f32 v9, v10, v9 :: v_dual_sub_f32 v4, v4, v22
	v_add_f32_e32 v17, v4, v5
	s_delay_alu instid0(VALU_DEP_1) | instskip(NEXT) | instid1(VALU_DEP_1)
	v_add_f32_e32 v9, v17, v9
	v_dual_sub_f32 v10, v17, v4 :: v_dual_add_f32 v21, v18, v9
	s_delay_alu instid0(VALU_DEP_1) | instskip(NEXT) | instid1(VALU_DEP_1)
	v_sub_f32_e32 v17, v17, v10
	v_dual_sub_f32 v4, v4, v17 :: v_dual_sub_f32 v5, v5, v10
	s_delay_alu instid0(VALU_DEP_3) | instskip(NEXT) | instid1(VALU_DEP_2)
	v_sub_f32_e32 v10, v21, v18
	v_add_f32_e32 v4, v5, v4
	s_delay_alu instid0(VALU_DEP_2) | instskip(NEXT) | instid1(VALU_DEP_1)
	v_sub_f32_e32 v5, v9, v10
	v_add_f32_e32 v4, v4, v5
	s_delay_alu instid0(VALU_DEP_1) | instskip(NEXT) | instid1(VALU_DEP_1)
	v_add_f32_e32 v5, v21, v4
	v_sub_f32_e32 v9, v5, v21
	v_mul_f32_e32 v10, v7, v5
	s_delay_alu instid0(VALU_DEP_2) | instskip(NEXT) | instid1(VALU_DEP_2)
	v_sub_f32_e32 v4, v4, v9
	v_fma_f32 v5, v7, v5, -v10
	v_cmp_class_f32_e64 s1, v10, 0x204
	s_delay_alu instid0(VALU_DEP_2) | instskip(NEXT) | instid1(VALU_DEP_1)
	v_fmac_f32_e32 v5, v7, v4
	v_add_f32_e32 v4, v10, v5
	s_delay_alu instid0(VALU_DEP_1) | instskip(NEXT) | instid1(VALU_DEP_1)
	v_cndmask_b32_e64 v9, v4, v10, s1
	v_cmp_eq_f32_e64 s1, 0x42b17218, v9
	s_delay_alu instid0(VALU_DEP_1) | instskip(NEXT) | instid1(VALU_DEP_1)
	v_cndmask_b32_e64 v17, 0, 0x37000000, s1
	v_sub_f32_e32 v18, v9, v17
	s_delay_alu instid0(VALU_DEP_1) | instskip(NEXT) | instid1(VALU_DEP_1)
	v_mul_f32_e32 v21, 0x3fb8aa3b, v18
	v_fma_f32 v22, 0x3fb8aa3b, v18, -v21
	v_rndne_f32_e32 v23, v21
	s_delay_alu instid0(VALU_DEP_1) | instskip(SKIP_2) | instid1(VALU_DEP_3)
	v_dual_fmamk_f32 v22, v18, 0x32a5705f, v22 :: v_dual_sub_f32 v21, v21, v23
	v_sub_f32_e32 v4, v4, v10
	v_cvt_i32_f32_e32 v10, v23
	v_add_f32_e32 v21, v21, v22
	s_delay_alu instid0(VALU_DEP_3) | instskip(SKIP_4) | instid1(VALU_DEP_2)
	v_sub_f32_e32 v4, v5, v4
	v_cndmask_b32_e64 v5, |v6|, 1.0, s0
	v_cmp_neq_f32_e64 s0, 0x7f800000, |v9|
	v_trunc_f32_e32 v9, v7
	v_exp_f32_e32 v21, v21
	v_cndmask_b32_e64 v4, 0, v4, s0
	v_cmp_ngt_f32_e64 s0, 0xc2ce8ed0, v18
	s_delay_alu instid0(VALU_DEP_2) | instskip(SKIP_3) | instid1(VALU_DEP_2)
	v_add_f32_e32 v4, v17, v4
	s_waitcnt_depctr 0xfff
	v_ldexp_f32 v6, v21, v10
	v_mul_f32_e32 v10, 0.5, v7
	v_cndmask_b32_e64 v6, 0, v6, s0
	v_cmp_nlt_f32_e64 s0, 0x42b17218, v18
	s_delay_alu instid0(VALU_DEP_3) | instskip(NEXT) | instid1(VALU_DEP_2)
	v_trunc_f32_e32 v21, v10
	v_cndmask_b32_e64 v6, 0x7f800000, v6, s0
	v_cmp_eq_f32_e64 s0, v9, v7
	s_delay_alu instid0(VALU_DEP_3)
	v_cmp_neq_f32_e64 s1, v21, v10
	v_cndmask_b32_e64 v9, v16, 1.0, vcc_lo
	v_cmp_neq_f32_e32 vcc_lo, v7, v5
	v_fma_f32 v4, v6, v4, v6
	v_cmp_class_f32_e64 s2, v6, 0x204
	s_and_b32 s1, s0, s1
	s_delay_alu instid0(SALU_CYCLE_1) | instskip(NEXT) | instid1(VALU_DEP_2)
	v_cndmask_b32_e64 v10, 1.0, v9, s1
	v_cndmask_b32_e64 v4, v4, v6, s2
	v_cmp_gt_f32_e64 s2, 1.0, v8
	s_delay_alu instid0(VALU_DEP_2) | instskip(NEXT) | instid1(VALU_DEP_2)
	v_bfi_b32 v4, 0x7fffffff, v4, v10
	s_xor_b32 s2, vcc_lo, s2
	v_cmp_eq_f32_e32 vcc_lo, 0, v9
	v_cndmask_b32_e64 v6, v5, 0, s2
	s_delay_alu instid0(VALU_DEP_3) | instskip(SKIP_1) | instid1(VALU_DEP_1)
	v_cndmask_b32_e64 v10, 0x7fc00000, v4, s0
	v_cmp_eq_f32_e64 s0, 1.0, v8
	v_cndmask_b32_e64 v6, v6, v8, s0
	s_xor_b32 s0, s3, vcc_lo
	s_delay_alu instid0(SALU_CYCLE_1) | instskip(SKIP_1) | instid1(VALU_DEP_1)
	v_cndmask_b32_e64 v16, 0x7f800000, 0, s0
	v_cmp_gt_f32_e64 s0, 0, v9
	v_cndmask_b32_e64 v4, v4, v10, s0
	v_cndmask_b32_e64 v10, 0, v9, s1
	v_cmp_eq_f32_e64 s1, 0x7f800000, v5
	v_cmp_eq_f32_e64 s0, 0x7f800000, v8
	s_delay_alu instid0(VALU_DEP_3) | instskip(NEXT) | instid1(VALU_DEP_3)
	v_bfi_b32 v5, 0x7fffffff, v16, v10
	v_cndmask_b32_e64 v4, v4, v6, s1
	s_delay_alu instid0(VALU_DEP_3) | instskip(NEXT) | instid1(VALU_DEP_1)
	s_or_b32 vcc_lo, s0, vcc_lo
	v_cndmask_b32_e32 v4, v4, v5, vcc_lo
	v_cmp_o_f32_e32 vcc_lo, v9, v7
	s_delay_alu instid0(VALU_DEP_2)
	v_cndmask_b32_e32 v4, 0x7fc00000, v4, vcc_lo
.LBB0_207:
	s_or_b32 exec_lo, exec_lo, s5
                                        ; implicit-def: $vgpr17
                                        ; implicit-def: $vgpr29
                                        ; implicit-def: $vgpr5
.LBB0_208:
	s_and_not1_saveexec_b32 s0, s4
	s_cbranch_execz .LBB0_212
; %bb.209:
	v_mov_b32_e32 v4, 0
	s_mov_b32 s1, exec_lo
	v_cmpx_eq_u32_e32 0, v17
; %bb.210:
	v_fma_f32 v4, v29, v5, 1.0
; %bb.211:
	s_or_b32 exec_lo, exec_lo, s1
.LBB0_212:
	s_delay_alu instid0(SALU_CYCLE_1) | instskip(NEXT) | instid1(VALU_DEP_1)
	s_or_b32 exec_lo, exec_lo, s0
	v_div_scale_f32 v5, null, v4, v4, 1.0
	v_div_scale_f32 v8, vcc_lo, 1.0, v4, 1.0
	s_mov_b32 s0, 0
	s_delay_alu instid0(VALU_DEP_2) | instskip(SKIP_3) | instid1(VALU_DEP_1)
	v_rcp_f32_e32 v6, v5
	s_mov_b32 s1, 0
                                        ; implicit-def: $sgpr2
	s_waitcnt_depctr 0xfff
	v_fma_f32 v7, -v5, v6, 1.0
	v_fmac_f32_e32 v6, v7, v6
	s_delay_alu instid0(VALU_DEP_1) | instskip(NEXT) | instid1(VALU_DEP_1)
	v_mul_f32_e32 v7, v8, v6
	v_fma_f32 v9, -v5, v7, v8
	s_delay_alu instid0(VALU_DEP_1) | instskip(NEXT) | instid1(VALU_DEP_1)
	v_fmac_f32_e32 v7, v9, v6
	v_fma_f32 v5, -v5, v7, v8
	s_delay_alu instid0(VALU_DEP_1) | instskip(NEXT) | instid1(VALU_DEP_1)
	v_div_fmas_f32 v5, v5, v6, v7
	v_div_fixup_f32 v4, v5, v4, 1.0
	s_delay_alu instid0(VALU_DEP_1) | instskip(SKIP_1) | instid1(VALU_DEP_2)
	v_div_scale_f32 v5, null, v4, v4, v15
	v_div_scale_f32 v8, vcc_lo, v15, v4, v15
	v_rcp_f32_e32 v6, v5
	s_waitcnt_depctr 0xfff
	v_fma_f32 v7, -v5, v6, 1.0
	s_delay_alu instid0(VALU_DEP_1) | instskip(NEXT) | instid1(VALU_DEP_1)
	v_fmac_f32_e32 v6, v7, v6
	v_mul_f32_e32 v7, v8, v6
	s_delay_alu instid0(VALU_DEP_1) | instskip(NEXT) | instid1(VALU_DEP_1)
	v_fma_f32 v9, -v5, v7, v8
	v_fmac_f32_e32 v7, v9, v6
	s_delay_alu instid0(VALU_DEP_1) | instskip(NEXT) | instid1(VALU_DEP_1)
	v_fma_f32 v5, -v5, v7, v8
	v_div_fmas_f32 v5, v5, v6, v7
	s_delay_alu instid0(VALU_DEP_1) | instskip(NEXT) | instid1(VALU_DEP_1)
	v_div_fixup_f32 v4, v5, v4, v15
	v_mul_f32_e32 v4, 0x42c80000, v4
	s_delay_alu instid0(VALU_DEP_1) | instskip(SKIP_1) | instid1(VALU_DEP_2)
	v_div_scale_f32 v5, null, 0x42c80000, 0x42c80000, v4
	v_div_scale_f32 v8, vcc_lo, v4, 0x42c80000, v4
	v_rcp_f32_e32 v6, v5
	s_waitcnt_depctr 0xfff
	v_fma_f32 v7, -v5, v6, 1.0
	s_delay_alu instid0(VALU_DEP_1) | instskip(NEXT) | instid1(VALU_DEP_1)
	v_fmac_f32_e32 v6, v7, v6
	v_mul_f32_e32 v7, v8, v6
	s_delay_alu instid0(VALU_DEP_1) | instskip(NEXT) | instid1(VALU_DEP_1)
	v_fma_f32 v9, -v5, v7, v8
	v_fmac_f32_e32 v7, v9, v6
	s_delay_alu instid0(VALU_DEP_1) | instskip(NEXT) | instid1(VALU_DEP_1)
	v_fma_f32 v5, -v5, v7, v8
	v_div_fmas_f32 v5, v5, v6, v7
	s_delay_alu instid0(VALU_DEP_1)
	v_div_fixup_f32 v6, v5, 0x42c80000, v4
	v_add_co_u32 v4, vcc_lo, s16, v11
	v_add_co_ci_u32_e32 v5, vcc_lo, s17, v12, vcc_lo
	global_store_b32 v[4:5], v6, off
	s_branch .LBB0_214
	.p2align	6
.LBB0_213:                              ;   in Loop: Header=BB0_214 Depth=1
	s_or_b32 exec_lo, exec_lo, s3
	s_delay_alu instid0(SALU_CYCLE_1) | instskip(NEXT) | instid1(SALU_CYCLE_1)
	s_and_b32 s3, exec_lo, s2
	s_or_b32 s0, s3, s0
	s_delay_alu instid0(SALU_CYCLE_1)
	s_and_not1_b32 exec_lo, exec_lo, s0
	s_cbranch_execz .LBB0_216
.LBB0_214:                              ; =>This Inner Loop Header: Depth=1
	scratch_load_b32 v6, v19, off
	v_mov_b32_e32 v9, s1
	s_or_b32 s2, s2, exec_lo
	s_mov_b32 s3, exec_lo
	s_waitcnt vmcnt(0)
	v_cmpx_lt_i32_e64 v6, v3
	s_cbranch_execz .LBB0_213
; %bb.215:                              ;   in Loop: Header=BB0_214 Depth=1
	s_add_i32 s1, s1, 1
	v_add_nc_u32_e32 v19, 52, v19
	v_cmp_eq_u32_e32 vcc_lo, s1, v20
	v_mov_b32_e32 v9, v173
	s_and_not1_b32 s2, s2, exec_lo
	s_and_b32 s4, vcc_lo, exec_lo
	s_delay_alu instid0(SALU_CYCLE_1)
	s_or_b32 s2, s2, s4
	s_branch .LBB0_213
.LBB0_216:
	s_or_b32 exec_lo, exec_lo, s0
	v_mov_b32_e32 v6, 0
	s_mov_b32 s1, exec_lo
	v_cmpx_le_u32_e64 v9, v173
	s_cbranch_execz .LBB0_224
; %bb.217:
	v_mul_lo_u32 v8, v9, 52
	v_add_co_u32 v6, vcc_lo, s10, v13
	v_add_co_ci_u32_e32 v7, vcc_lo, s11, v14, vcc_lo
	v_dual_mov_b32 v9, 0 :: v_dual_add_nc_u32 v10, -1, v9
	s_delay_alu instid0(VALU_DEP_3) | instskip(NEXT) | instid1(VALU_DEP_3)
	v_add_co_u32 v6, vcc_lo, v6, 12
	v_add_co_ci_u32_e32 v7, vcc_lo, 0, v7, vcc_lo
	v_add3_u32 v8, 0x230, v8, 44
	s_mov_b32 s2, 0
	s_branch .LBB0_220
.LBB0_218:                              ;   in Loop: Header=BB0_220 Depth=1
	s_or_b32 exec_lo, exec_lo, s4
.LBB0_219:                              ;   in Loop: Header=BB0_220 Depth=1
	s_delay_alu instid0(SALU_CYCLE_1) | instskip(NEXT) | instid1(VALU_DEP_1)
	s_or_b32 exec_lo, exec_lo, s3
	v_dual_add_f32 v9, v9, v13 :: v_dual_add_nc_u32 v10, 1, v10
	v_add_nc_u32_e32 v8, 52, v8
	s_delay_alu instid0(VALU_DEP_2) | instskip(SKIP_1) | instid1(SALU_CYCLE_1)
	v_cmp_ge_u32_e32 vcc_lo, v10, v173
	s_or_b32 s2, vcc_lo, s2
	s_and_not1_b32 exec_lo, exec_lo, s2
	s_cbranch_execz .LBB0_223
.LBB0_220:                              ; =>This Inner Loop Header: Depth=1
	scratch_load_b32 v13, v8, off offset:-16
	s_waitcnt vmcnt(0)
	v_cmp_lt_i32_e32 vcc_lo, v13, v3
	v_mov_b32_e32 v13, 0
	s_and_saveexec_b32 s3, vcc_lo
	s_cbranch_execz .LBB0_219
; %bb.221:                              ;   in Loop: Header=BB0_220 Depth=1
	global_load_b32 v13, v[6:7], off
	s_waitcnt vmcnt(0)
	v_cmp_ge_i32_e32 vcc_lo, v13, v3
	v_mov_b32_e32 v13, 0
	s_and_saveexec_b32 s4, vcc_lo
	s_cbranch_execz .LBB0_218
; %bb.222:                              ;   in Loop: Header=BB0_220 Depth=1
	s_clause 0x1
	scratch_load_b128 v[13:16], v8, off offset:-12
	scratch_load_b96 v[17:19], v8, off offset:-28
	s_waitcnt vmcnt(1)
	v_cmp_gt_i32_e32 vcc_lo, v16, v3
	s_waitcnt vmcnt(0)
	v_cmp_gt_i32_e64 s0, 30, v18
	v_not_b32_e32 v17, v17
	v_cndmask_b32_e32 v14, v14, v1, vcc_lo
	v_dual_cndmask_b32 v16, v13, v0 :: v_dual_cndmask_b32 v15, v15, v2
	v_sub_nc_u32_e32 v13, 30, v18
	s_delay_alu instid0(VALU_DEP_3) | instskip(NEXT) | instid1(VALU_DEP_3)
	v_cmp_eq_u32_e32 vcc_lo, 31, v14
	v_sub_nc_u32_e32 v18, v15, v19
	s_delay_alu instid0(VALU_DEP_3) | instskip(SKIP_1) | instid1(SALU_CYCLE_1)
	v_max_i32_e32 v13, 0, v13
	s_and_b32 vcc_lo, vcc_lo, s0
	v_add_co_ci_u32_e64 v16, s0, v16, v17, vcc_lo
	v_min_i32_e32 v17, 30, v14
	s_delay_alu instid0(VALU_DEP_3) | instskip(NEXT) | instid1(VALU_DEP_3)
	v_mad_u64_u32 v[14:15], null, 0x168, v18, v[13:14]
	v_mul_lo_u32 v13, v16, 30
	s_delay_alu instid0(VALU_DEP_3) | instskip(NEXT) | instid1(VALU_DEP_1)
	v_cndmask_b32_e64 v15, v17, 1, vcc_lo
	v_add3_u32 v13, v14, v15, v13
	s_delay_alu instid0(VALU_DEP_1) | instskip(NEXT) | instid1(VALU_DEP_1)
	v_cvt_f32_i32_e32 v13, v13
	v_div_scale_f32 v14, null, 0x43b40000, 0x43b40000, v13
	s_delay_alu instid0(VALU_DEP_1) | instskip(SKIP_2) | instid1(VALU_DEP_1)
	v_rcp_f32_e32 v15, v14
	s_waitcnt_depctr 0xfff
	v_fma_f32 v16, -v14, v15, 1.0
	v_fmac_f32_e32 v15, v16, v15
	v_div_scale_f32 v16, vcc_lo, v13, 0x43b40000, v13
	s_delay_alu instid0(VALU_DEP_1) | instskip(NEXT) | instid1(VALU_DEP_1)
	v_mul_f32_e32 v17, v16, v15
	v_fma_f32 v18, -v14, v17, v16
	s_delay_alu instid0(VALU_DEP_1) | instskip(NEXT) | instid1(VALU_DEP_1)
	v_fmac_f32_e32 v17, v18, v15
	v_fma_f32 v14, -v14, v17, v16
	s_delay_alu instid0(VALU_DEP_1) | instskip(NEXT) | instid1(VALU_DEP_1)
	v_div_fmas_f32 v14, v14, v15, v17
	v_div_fixup_f32 v13, v14, 0x43b40000, v13
	s_delay_alu instid0(VALU_DEP_1) | instskip(NEXT) | instid1(VALU_DEP_1)
	v_fma_f32 v13, v160, v13, 1.0
	v_add_f32_e32 v13, -1.0, v13
	s_delay_alu instid0(VALU_DEP_1)
	v_mul_f32_e32 v13, 0x42c80000, v13
	s_branch .LBB0_218
.LBB0_223:
	s_or_b32 exec_lo, exec_lo, s2
	v_mul_f32_e32 v6, 0x42c80000, v9
.LBB0_224:
	s_or_b32 exec_lo, exec_lo, s1
	s_delay_alu instid0(VALU_DEP_1) | instskip(SKIP_1) | instid1(VALU_DEP_2)
	v_div_scale_f32 v0, null, 0x42c80000, 0x42c80000, v6
	v_div_scale_f32 v3, vcc_lo, v6, 0x42c80000, v6
	v_rcp_f32_e32 v1, v0
	s_waitcnt_depctr 0xfff
	v_fma_f32 v2, -v0, v1, 1.0
	s_delay_alu instid0(VALU_DEP_1) | instskip(NEXT) | instid1(VALU_DEP_1)
	v_fmac_f32_e32 v1, v2, v1
	v_mul_f32_e32 v2, v3, v1
	s_delay_alu instid0(VALU_DEP_1) | instskip(NEXT) | instid1(VALU_DEP_1)
	v_fma_f32 v7, -v0, v2, v3
	v_fmac_f32_e32 v2, v7, v1
	s_delay_alu instid0(VALU_DEP_1) | instskip(NEXT) | instid1(VALU_DEP_1)
	v_fma_f32 v0, -v0, v2, v3
	v_div_fmas_f32 v2, v0, v1, v2
	v_add_co_u32 v0, vcc_lo, s18, v11
	v_add_co_ci_u32_e32 v1, vcc_lo, s19, v12, vcc_lo
	s_delay_alu instid0(VALU_DEP_3)
	v_div_fixup_f32 v2, v2, 0x42c80000, v6
	global_store_b32 v[0:1], v2, off
	global_load_b32 v0, v[4:5], off
	s_waitcnt vmcnt(0)
	v_sub_f32_e32 v2, v0, v2
	v_add_co_u32 v0, vcc_lo, s20, v11
	v_add_co_ci_u32_e32 v1, vcc_lo, s21, v12, vcc_lo
	global_store_b32 v[0:1], v2, off
.LBB0_225:
	s_endpgm
	.section	.rodata,"a",@progbits
	.p2align	6, 0x0
	.amdhsa_kernel _Z5bonds12inArgsStruct13resultsStructi
		.amdhsa_group_segment_fixed_size 0
		.amdhsa_private_segment_fixed_size 1040
		.amdhsa_kernarg_size 352
		.amdhsa_user_sgpr_count 15
		.amdhsa_user_sgpr_dispatch_ptr 0
		.amdhsa_user_sgpr_queue_ptr 0
		.amdhsa_user_sgpr_kernarg_segment_ptr 1
		.amdhsa_user_sgpr_dispatch_id 0
		.amdhsa_user_sgpr_private_segment_size 0
		.amdhsa_wavefront_size32 1
		.amdhsa_uses_dynamic_stack 0
		.amdhsa_enable_private_segment 1
		.amdhsa_system_sgpr_workgroup_id_x 1
		.amdhsa_system_sgpr_workgroup_id_y 0
		.amdhsa_system_sgpr_workgroup_id_z 0
		.amdhsa_system_sgpr_workgroup_info 0
		.amdhsa_system_vgpr_workitem_id 0
		.amdhsa_next_free_vgpr 185
		.amdhsa_next_free_sgpr 36
		.amdhsa_reserve_vcc 1
		.amdhsa_float_round_mode_32 0
		.amdhsa_float_round_mode_16_64 0
		.amdhsa_float_denorm_mode_32 3
		.amdhsa_float_denorm_mode_16_64 3
		.amdhsa_dx10_clamp 1
		.amdhsa_ieee_mode 1
		.amdhsa_fp16_overflow 0
		.amdhsa_workgroup_processor_mode 1
		.amdhsa_memory_ordered 1
		.amdhsa_forward_progress 0
		.amdhsa_shared_vgpr_count 0
		.amdhsa_exception_fp_ieee_invalid_op 0
		.amdhsa_exception_fp_denorm_src 0
		.amdhsa_exception_fp_ieee_div_zero 0
		.amdhsa_exception_fp_ieee_overflow 0
		.amdhsa_exception_fp_ieee_underflow 0
		.amdhsa_exception_fp_ieee_inexact 0
		.amdhsa_exception_int_div_zero 0
	.end_amdhsa_kernel
	.text
.Lfunc_end0:
	.size	_Z5bonds12inArgsStruct13resultsStructi, .Lfunc_end0-_Z5bonds12inArgsStruct13resultsStructi
                                        ; -- End function
	.section	.AMDGPU.csdata,"",@progbits
; Kernel info:
; codeLenInByte = 35444
; NumSgprs: 38
; NumVgprs: 185
; ScratchSize: 1040
; MemoryBound: 1
; FloatMode: 240
; IeeeMode: 1
; LDSByteSize: 0 bytes/workgroup (compile time only)
; SGPRBlocks: 4
; VGPRBlocks: 23
; NumSGPRsForWavesPerEU: 38
; NumVGPRsForWavesPerEU: 185
; Occupancy: 8
; WaveLimiterHint : 0
; COMPUTE_PGM_RSRC2:SCRATCH_EN: 1
; COMPUTE_PGM_RSRC2:USER_SGPR: 15
; COMPUTE_PGM_RSRC2:TRAP_HANDLER: 0
; COMPUTE_PGM_RSRC2:TGID_X_EN: 1
; COMPUTE_PGM_RSRC2:TGID_Y_EN: 0
; COMPUTE_PGM_RSRC2:TGID_Z_EN: 0
; COMPUTE_PGM_RSRC2:TIDIG_COMP_CNT: 0
	.text
	.p2alignl 7, 3214868480
	.fill 96, 4, 3214868480
	.type	__hip_cuid_7242c446e0c14f1e,@object ; @__hip_cuid_7242c446e0c14f1e
	.section	.bss,"aw",@nobits
	.globl	__hip_cuid_7242c446e0c14f1e
__hip_cuid_7242c446e0c14f1e:
	.byte	0                               ; 0x0
	.size	__hip_cuid_7242c446e0c14f1e, 1

	.ident	"AMD clang version 19.0.0git (https://github.com/RadeonOpenCompute/llvm-project roc-6.4.0 25133 c7fe45cf4b819c5991fe208aaa96edf142730f1d)"
	.section	".note.GNU-stack","",@progbits
	.addrsig
	.addrsig_sym __hip_cuid_7242c446e0c14f1e
	.amdgpu_metadata
---
amdhsa.kernels:
  - .args:
      - .offset:         0
        .size:           56
        .value_kind:     by_value
      - .offset:         56
        .size:           32
        .value_kind:     by_value
      - .offset:         88
        .size:           4
        .value_kind:     by_value
      - .offset:         96
        .size:           4
        .value_kind:     hidden_block_count_x
      - .offset:         100
        .size:           4
        .value_kind:     hidden_block_count_y
      - .offset:         104
        .size:           4
        .value_kind:     hidden_block_count_z
      - .offset:         108
        .size:           2
        .value_kind:     hidden_group_size_x
      - .offset:         110
        .size:           2
        .value_kind:     hidden_group_size_y
      - .offset:         112
        .size:           2
        .value_kind:     hidden_group_size_z
      - .offset:         114
        .size:           2
        .value_kind:     hidden_remainder_x
      - .offset:         116
        .size:           2
        .value_kind:     hidden_remainder_y
      - .offset:         118
        .size:           2
        .value_kind:     hidden_remainder_z
      - .offset:         136
        .size:           8
        .value_kind:     hidden_global_offset_x
      - .offset:         144
        .size:           8
        .value_kind:     hidden_global_offset_y
      - .offset:         152
        .size:           8
        .value_kind:     hidden_global_offset_z
      - .offset:         160
        .size:           2
        .value_kind:     hidden_grid_dims
    .group_segment_fixed_size: 0
    .kernarg_segment_align: 8
    .kernarg_segment_size: 352
    .language:       OpenCL C
    .language_version:
      - 2
      - 0
    .max_flat_workgroup_size: 1024
    .name:           _Z5bonds12inArgsStruct13resultsStructi
    .private_segment_fixed_size: 1040
    .sgpr_count:     38
    .sgpr_spill_count: 0
    .symbol:         _Z5bonds12inArgsStruct13resultsStructi.kd
    .uniform_work_group_size: 1
    .uses_dynamic_stack: false
    .vgpr_count:     185
    .vgpr_spill_count: 0
    .wavefront_size: 32
    .workgroup_processor_mode: 1
amdhsa.target:   amdgcn-amd-amdhsa--gfx1100
amdhsa.version:
  - 1
  - 2
...

	.end_amdgpu_metadata
